;; amdgpu-corpus repo=ROCm/rocFFT kind=compiled arch=gfx1201 opt=O3
	.text
	.amdgcn_target "amdgcn-amd-amdhsa--gfx1201"
	.amdhsa_code_object_version 6
	.protected	bluestein_single_fwd_len1386_dim1_dp_op_CI_CI ; -- Begin function bluestein_single_fwd_len1386_dim1_dp_op_CI_CI
	.globl	bluestein_single_fwd_len1386_dim1_dp_op_CI_CI
	.p2align	8
	.type	bluestein_single_fwd_len1386_dim1_dp_op_CI_CI,@function
bluestein_single_fwd_len1386_dim1_dp_op_CI_CI: ; @bluestein_single_fwd_len1386_dim1_dp_op_CI_CI
; %bb.0:
	s_load_b128 s[8:11], s[0:1], 0x28
	v_mul_u32_u24_e32 v1, 0x11c, v0
	s_mov_b32 s2, exec_lo
	v_mov_b32_e32 v5, 0
	s_delay_alu instid0(VALU_DEP_2) | instskip(NEXT) | instid1(VALU_DEP_1)
	v_lshrrev_b32_e32 v1, 16, v1
	v_add_nc_u32_e32 v4, ttmp9, v1
	s_wait_kmcnt 0x0
	s_delay_alu instid0(VALU_DEP_1)
	v_cmpx_gt_u64_e64 s[8:9], v[4:5]
	s_cbranch_execz .LBB0_18
; %bb.1:
	s_load_b128 s[4:7], s[0:1], 0x18
	v_mul_lo_u16 v1, 0xe7, v1
	v_mov_b32_e32 v5, v4
	s_delay_alu instid0(VALU_DEP_2) | instskip(SKIP_2) | instid1(VALU_DEP_1)
	v_sub_nc_u16 v72, v0, v1
	scratch_store_b64 off, v[5:6], off      ; 8-byte Folded Spill
	v_and_b32_e32 v120, 0xffff, v72
	v_lshlrev_b32_e32 v83, 5, v120
	v_lshlrev_b32_e32 v164, 4, v120
	s_wait_kmcnt 0x0
	s_load_b128 s[12:15], s[4:5], 0x0
	s_wait_kmcnt 0x0
	v_mad_co_u64_u32 v[0:1], null, s14, v4, 0
	v_mad_co_u64_u32 v[2:3], null, s12, v120, 0
	s_mul_u64 s[2:3], s[12:13], 0x2b50
	s_mul_i32 s4, s13, 0xffffe320
	s_delay_alu instid0(SALU_CYCLE_1) | instskip(NEXT) | instid1(VALU_DEP_1)
	s_sub_co_i32 s4, s4, s12
	v_mad_co_u64_u32 v[4:5], null, s15, v4, v[1:2]
	s_delay_alu instid0(VALU_DEP_1) | instskip(SKIP_1) | instid1(VALU_DEP_1)
	v_mad_co_u64_u32 v[5:6], null, s13, v120, v[3:4]
	v_mov_b32_e32 v1, v4
	v_lshlrev_b64_e32 v[0:1], 4, v[0:1]
	s_delay_alu instid0(VALU_DEP_3) | instskip(NEXT) | instid1(VALU_DEP_2)
	v_mov_b32_e32 v3, v5
	v_add_co_u32 v0, vcc_lo, s10, v0
	s_delay_alu instid0(VALU_DEP_2) | instskip(NEXT) | instid1(VALU_DEP_4)
	v_lshlrev_b64_e32 v[2:3], 4, v[2:3]
	v_add_co_ci_u32_e32 v1, vcc_lo, s11, v1, vcc_lo
	s_load_b128 s[8:11], s[0:1], 0x0
	s_delay_alu instid0(VALU_DEP_2) | instskip(SKIP_1) | instid1(VALU_DEP_2)
	v_add_co_u32 v0, vcc_lo, v0, v2
	s_wait_alu 0xfffd
	v_add_co_ci_u32_e32 v1, vcc_lo, v1, v3, vcc_lo
	s_delay_alu instid0(VALU_DEP_2) | instskip(SKIP_1) | instid1(VALU_DEP_2)
	v_add_co_u32 v4, vcc_lo, v0, s2
	s_wait_alu 0xfffd
	v_add_co_ci_u32_e32 v5, vcc_lo, s3, v1, vcc_lo
	s_delay_alu instid0(VALU_DEP_1) | instskip(NEXT) | instid1(VALU_DEP_1)
	v_mad_co_u64_u32 v[8:9], null, 0xffffe320, s12, v[4:5]
	v_add_nc_u32_e32 v9, s4, v9
	s_delay_alu instid0(VALU_DEP_2) | instskip(SKIP_1) | instid1(VALU_DEP_2)
	v_add_co_u32 v12, vcc_lo, v8, s2
	s_wait_alu 0xfffd
	v_add_co_ci_u32_e32 v13, vcc_lo, s3, v9, vcc_lo
	s_delay_alu instid0(VALU_DEP_1) | instskip(NEXT) | instid1(VALU_DEP_1)
	v_mad_co_u64_u32 v[16:17], null, 0xffffe320, s12, v[12:13]
	v_add_nc_u32_e32 v17, s4, v17
	s_delay_alu instid0(VALU_DEP_2) | instskip(SKIP_1) | instid1(VALU_DEP_2)
	v_add_co_u32 v20, vcc_lo, v16, s2
	s_wait_alu 0xfffd
	v_add_co_ci_u32_e32 v21, vcc_lo, s3, v17, vcc_lo
	s_load_b64 s[2:3], s[0:1], 0x38
	s_wait_kmcnt 0x0
	s_clause 0x3
	global_load_b128 v[52:55], v164, s[8:9] offset:11088
	global_load_b128 v[60:63], v164, s[8:9]
	global_load_b128 v[56:59], v164, s[8:9] offset:3696
	global_load_b128 v[48:51], v164, s[8:9] offset:14784
	s_clause 0x3
	global_load_b128 v[0:3], v[0:1], off
	global_load_b128 v[4:7], v[4:5], off
	;; [unrolled: 1-line block ×4, first 2 shown]
	global_load_b128 v[64:67], v164, s[8:9] offset:7392
	global_load_b128 v[16:19], v[16:17], off
	global_load_b128 v[68:71], v164, s[8:9] offset:18480
	global_load_b128 v[20:23], v[20:21], off
	s_load_b128 s[4:7], s[6:7], 0x0
	v_add_co_u32 v76, s0, 0xe7, v120
	v_cmp_gt_u16_e32 vcc_lo, 0xc6, v72
                                        ; implicit-def: $vgpr72_vgpr73
	s_wait_loadcnt 0xb
	scratch_store_b128 off, v[52:55], off offset:28 ; 16-byte Folded Spill
	s_wait_loadcnt 0xa
	scratch_store_b128 off, v[60:63], off offset:60 ; 16-byte Folded Spill
	;; [unrolled: 2-line block ×3, first 2 shown]
	s_wait_loadcnt 0x4
	v_mul_f64_e32 v[36:37], v[14:15], v[50:51]
	v_mul_f64_e32 v[24:25], v[2:3], v[62:63]
	;; [unrolled: 1-line block ×7, first 2 shown]
	s_wait_loadcnt 0x2
	v_mul_f64_e32 v[40:41], v[18:19], v[66:67]
	v_mul_f64_e32 v[42:43], v[16:17], v[66:67]
	;; [unrolled: 1-line block ×3, first 2 shown]
	s_wait_loadcnt 0x0
	v_mul_f64_e32 v[44:45], v[22:23], v[70:71]
	v_mul_f64_e32 v[46:47], v[20:21], v[70:71]
	s_clause 0x2
	scratch_store_b128 off, v[48:51], off offset:12
	scratch_store_b128 off, v[64:67], off offset:76
	;; [unrolled: 1-line block ×3, first 2 shown]
	v_fma_f64 v[12:13], v[12:13], v[48:49], v[36:37]
	v_fma_f64 v[0:1], v[0:1], v[60:61], v[24:25]
	v_fma_f64 v[2:3], v[2:3], v[60:61], -v[26:27]
	v_fma_f64 v[8:9], v[8:9], v[56:57], v[32:33]
	v_fma_f64 v[10:11], v[10:11], v[56:57], -v[34:35]
	;; [unrolled: 2-line block ×4, first 2 shown]
	v_fma_f64 v[14:15], v[14:15], v[48:49], -v[38:39]
	v_fma_f64 v[20:21], v[20:21], v[68:69], v[44:45]
	v_fma_f64 v[22:23], v[22:23], v[68:69], -v[46:47]
	ds_store_b128 v164, v[0:3]
	ds_store_b128 v164, v[8:11] offset:3696
	ds_store_b128 v164, v[4:7] offset:11088
	;; [unrolled: 1-line block ×5, first 2 shown]
	global_wb scope:SCOPE_SE
	s_wait_storecnt_dscnt 0x0
	s_wait_kmcnt 0x0
	s_barrier_signal -1
	s_barrier_wait -1
	global_inv scope:SCOPE_SE
	ds_load_b128 v[0:3], v164 offset:11088
	ds_load_b128 v[4:7], v164
	ds_load_b128 v[8:11], v164 offset:3696
	ds_load_b128 v[12:15], v164 offset:14784
	;; [unrolled: 1-line block ×4, first 2 shown]
	global_wb scope:SCOPE_SE
	s_wait_dscnt 0x0
	s_barrier_signal -1
	s_barrier_wait -1
	global_inv scope:SCOPE_SE
	v_add_f64_e64 v[52:53], v[4:5], -v[0:1]
	v_add_f64_e64 v[54:55], v[6:7], -v[2:3]
	;; [unrolled: 1-line block ×6, first 2 shown]
	s_wait_alu 0xf1ff
	v_add_co_ci_u32_e64 v0, null, 0, 0, s0
	v_lshlrev_b32_e32 v0, 5, v76
	v_fma_f64 v[48:49], v[4:5], 2.0, -v[52:53]
	v_fma_f64 v[50:51], v[6:7], 2.0, -v[54:55]
	;; [unrolled: 1-line block ×6, first 2 shown]
	ds_store_b128 v83, v[48:51]
	ds_store_b128 v83, v[52:55] offset:16
	ds_store_b128 v0, v[60:63]
	scratch_store_b32 off, v0, off offset:112 ; 4-byte Folded Spill
	ds_store_b128 v0, v[56:59] offset:16
	ds_store_b128 v83, v[64:67] offset:14784
	ds_store_b128 v83, v[68:71] offset:14800
	global_wb scope:SCOPE_SE
	s_wait_storecnt_dscnt 0x0
	s_barrier_signal -1
	s_barrier_wait -1
	global_inv scope:SCOPE_SE
	s_and_saveexec_b32 s0, vcc_lo
	s_cbranch_execz .LBB0_3
; %bb.2:
	ds_load_b128 v[48:51], v164
	ds_load_b128 v[52:55], v164 offset:3168
	ds_load_b128 v[60:63], v164 offset:6336
	ds_load_b128 v[56:59], v164 offset:9504
	ds_load_b128 v[64:67], v164 offset:12672
	ds_load_b128 v[68:71], v164 offset:15840
	ds_load_b128 v[72:75], v164 offset:19008
.LBB0_3:
	s_wait_alu 0xfffe
	s_or_b32 exec_lo, exec_lo, s0
	v_and_b32_e32 v0, 1, v120
	s_mov_b32 s0, 0x37e14327
	s_mov_b32 s12, 0xb247c609
	;; [unrolled: 1-line block ×4, first 2 shown]
	scratch_store_b32 off, v0, off offset:136 ; 4-byte Folded Spill
	v_mul_u32_u24_e32 v0, 6, v0
	s_mov_b32 s14, 0xaaaaaaaa
	s_mov_b32 s15, 0xbff2aaaa
	s_delay_alu instid0(VALU_DEP_1)
	v_lshlrev_b32_e32 v0, 4, v0
	s_clause 0x5
	global_load_b128 v[28:31], v0, s[10:11]
	global_load_b128 v[24:27], v0, s[10:11] offset:16
	global_load_b128 v[32:35], v0, s[10:11] offset:80
	;; [unrolled: 1-line block ×5, first 2 shown]
	s_wait_loadcnt_dscnt 0x505
	v_mul_f64_e32 v[0:1], v[54:55], v[30:31]
	v_mul_f64_e32 v[2:3], v[52:53], v[30:31]
	s_wait_loadcnt_dscnt 0x404
	v_mul_f64_e32 v[4:5], v[62:63], v[26:27]
	v_mul_f64_e32 v[6:7], v[60:61], v[26:27]
	;; [unrolled: 3-line block ×3, first 2 shown]
	s_wait_loadcnt 0x2
	v_mul_f64_e32 v[12:13], v[70:71], v[46:47]
	v_mul_f64_e32 v[14:15], v[68:69], v[46:47]
	s_wait_loadcnt 0x1
	v_mul_f64_e32 v[16:17], v[58:59], v[42:43]
	v_mul_f64_e32 v[18:19], v[56:57], v[42:43]
	s_wait_loadcnt 0x0
	v_mul_f64_e32 v[20:21], v[66:67], v[38:39]
	v_mul_f64_e32 v[22:23], v[64:65], v[38:39]
	v_fma_f64 v[52:53], v[52:53], v[28:29], -v[0:1]
	v_fma_f64 v[2:3], v[54:55], v[28:29], v[2:3]
	v_fma_f64 v[54:55], v[60:61], v[24:25], -v[4:5]
	v_fma_f64 v[60:61], v[62:63], v[24:25], v[6:7]
	;; [unrolled: 2-line block ×6, first 2 shown]
	v_add_f64_e32 v[0:1], v[52:53], v[8:9]
	v_add_f64_e32 v[6:7], v[2:3], v[62:63]
	;; [unrolled: 1-line block ×4, first 2 shown]
	v_add_f64_e64 v[12:13], v[52:53], -v[8:9]
	v_add_f64_e64 v[2:3], v[2:3], -v[62:63]
	v_add_f64_e32 v[52:53], v[16:17], v[20:21]
	v_add_f64_e32 v[58:59], v[18:19], v[22:23]
	v_add_f64_e64 v[16:17], v[20:21], -v[16:17]
	v_add_f64_e64 v[18:19], v[22:23], -v[18:19]
	v_add_f64_e64 v[20:21], v[54:55], -v[68:69]
	v_add_f64_e64 v[8:9], v[60:61], -v[14:15]
	v_add_f64_e32 v[22:23], v[4:5], v[0:1]
	v_add_f64_e32 v[56:57], v[10:11], v[6:7]
	v_add_f64_e64 v[14:15], v[0:1], -v[52:53]
	v_add_f64_e64 v[54:55], v[6:7], -v[58:59]
	;; [unrolled: 6-line block ×3, first 2 shown]
	v_add_f64_e32 v[22:23], v[52:53], v[22:23]
	v_add_f64_e32 v[77:78], v[58:59], v[56:57]
	v_add_f64_e64 v[56:57], v[52:53], -v[4:5]
	v_add_f64_e64 v[58:59], v[58:59], -v[10:11]
	s_wait_alu 0xfffe
	v_mul_f64_e32 v[52:53], s[0:1], v[14:15]
	v_mul_f64_e32 v[54:55], s[0:1], v[54:55]
	;; [unrolled: 1-line block ×4, first 2 shown]
	s_mov_b32 s0, 0x36b3c0b5
	s_mov_b32 s12, 0xe976ee23
	;; [unrolled: 1-line block ×4, first 2 shown]
	v_add_f64_e32 v[72:73], v[72:73], v[12:13]
	v_add_f64_e32 v[74:75], v[74:75], v[2:3]
	;; [unrolled: 1-line block ×4, first 2 shown]
	s_wait_alu 0xfffe
	v_fma_f64 v[16:17], v[56:57], s[0:1], v[52:53]
	v_fma_f64 v[79:80], v[58:59], s[0:1], v[54:55]
	;; [unrolled: 1-line block ×6, first 2 shown]
	s_mov_b32 s14, 0x37c3f68c
	s_mov_b32 s15, 0x3fdc38aa
	v_lshrrev_b32_e32 v77, 1, v120
	s_wait_alu 0xfffe
	v_fma_f64 v[18:19], v[72:73], s[14:15], v[14:15]
	v_fma_f64 v[14:15], v[74:75], s[14:15], v[81:82]
	scratch_store_b32 off, v77, off offset:140 ; 4-byte Folded Spill
	global_wb scope:SCOPE_SE
	s_wait_storecnt 0x0
	s_barrier_signal -1
	s_barrier_wait -1
	global_inv scope:SCOPE_SE
	v_add_f64_e32 v[16:17], v[16:17], v[60:61]
	v_add_f64_e32 v[22:23], v[79:80], v[66:67]
	s_delay_alu instid0(VALU_DEP_2) | instskip(NEXT) | instid1(VALU_DEP_2)
	v_add_f64_e64 v[108:109], v[16:17], -v[14:15]
	v_add_f64_e32 v[110:111], v[18:19], v[22:23]
	s_and_saveexec_b32 s16, vcc_lo
	s_cbranch_execz .LBB0_5
; %bb.4:
	v_add_f64_e64 v[12:13], v[20:21], -v[12:13]
	v_add_f64_e64 v[6:7], v[10:11], -v[6:7]
	;; [unrolled: 1-line block ×4, first 2 shown]
	v_mul_f64_e32 v[4:5], s[0:1], v[58:59]
	v_mul_f64_e32 v[8:9], s[12:13], v[64:65]
	;; [unrolled: 1-line block ×4, first 2 shown]
	s_mov_b32 s1, 0xbfebfeb5
	s_mov_b32 s0, 0x429ad128
	;; [unrolled: 1-line block ×4, first 2 shown]
	v_mul_f64_e32 v[56:57], s[14:15], v[72:73]
	v_mul_f64_e32 v[58:59], s[14:15], v[74:75]
	s_wait_alu 0xfffe
	v_fma_f64 v[62:63], v[12:13], s[0:1], -v[70:71]
	v_fma_f64 v[54:55], v[6:7], s[12:13], -v[54:55]
	;; [unrolled: 1-line block ×4, first 2 shown]
	s_mov_b32 s13, 0x3fe77f67
	s_mov_b32 s1, 0x3febfeb5
	s_wait_alu 0xfffe
	v_fma_f64 v[4:5], v[6:7], s[12:13], -v[4:5]
	v_fma_f64 v[6:7], v[12:13], s[0:1], -v[8:9]
	;; [unrolled: 1-line block ×4, first 2 shown]
	v_add_f64_e32 v[8:9], v[56:57], v[62:63]
	v_add_f64_e32 v[10:11], v[54:55], v[66:67]
	;; [unrolled: 1-line block ×8, first 2 shown]
	v_add_f64_e64 v[2:3], v[22:23], -v[18:19]
	v_add_f64_e32 v[0:1], v[14:15], v[16:17]
	v_add_f64_e32 v[6:7], v[8:9], v[10:11]
	v_add_f64_e64 v[10:11], v[10:11], -v[8:9]
	v_add_f64_e32 v[8:9], v[52:53], v[20:21]
	v_add_f64_e32 v[18:19], v[12:13], v[4:5]
	v_add_f64_e64 v[14:15], v[4:5], -v[12:13]
	v_add_f64_e64 v[16:17], v[54:55], -v[56:57]
	v_add_f64_e32 v[12:13], v[56:57], v[54:55]
	v_add_f64_e64 v[4:5], v[20:21], -v[52:53]
	v_lshrrev_b32_e32 v20, 1, v120
	v_and_b32_e32 v21, 1, v120
	s_delay_alu instid0(VALU_DEP_2) | instskip(NEXT) | instid1(VALU_DEP_1)
	v_mul_u32_u24_e32 v20, 14, v20
	v_or_b32_e32 v20, v20, v21
	s_delay_alu instid0(VALU_DEP_1)
	v_lshlrev_b32_e32 v20, 4, v20
	ds_store_b128 v20, v[48:51]
	ds_store_b128 v20, v[0:3] offset:32
	ds_store_b128 v20, v[8:11] offset:64
	;; [unrolled: 1-line block ×6, first 2 shown]
.LBB0_5:
	s_or_b32 exec_lo, exec_lo, s16
	v_lshrrev_b16 v0, 1, v76
	v_lshrrev_b16 v1, 1, v120
	scratch_store_b32 off, v83, off offset:116 ; 4-byte Folded Spill
	global_wb scope:SCOPE_SE
	s_wait_storecnt_dscnt 0x0
	s_barrier_signal -1
	v_and_b32_e32 v2, 0xffff, v0
	v_and_b32_e32 v0, 0x7f, v1
	s_barrier_wait -1
	global_inv scope:SCOPE_SE
	s_mov_b32 s13, 0xbfebb67a
	v_mul_u32_u24_e32 v1, 0x4925, v2
	v_mul_lo_u16 v2, 0x93, v0
                                        ; implicit-def: $vgpr100_vgpr101
                                        ; implicit-def: $vgpr116_vgpr117
                                        ; implicit-def: $vgpr92_vgpr93
	s_delay_alu instid0(VALU_DEP_2) | instskip(NEXT) | instid1(VALU_DEP_2)
	v_lshrrev_b32_e32 v23, 17, v1
	v_lshrrev_b16 v88, 10, v2
	s_delay_alu instid0(VALU_DEP_2) | instskip(NEXT) | instid1(VALU_DEP_2)
	v_mul_lo_u16 v1, v23, 14
	v_mul_lo_u16 v2, v88, 14
	s_delay_alu instid0(VALU_DEP_2) | instskip(NEXT) | instid1(VALU_DEP_2)
	v_sub_nc_u16 v89, v76, v1
	v_sub_nc_u16 v1, v120, v2
	s_delay_alu instid0(VALU_DEP_2) | instskip(NEXT) | instid1(VALU_DEP_2)
	v_lshlrev_b16 v2, 5, v89
	v_and_b32_e32 v90, 0xff, v1
	s_delay_alu instid0(VALU_DEP_2) | instskip(NEXT) | instid1(VALU_DEP_2)
	v_and_b32_e32 v1, 0xffff, v2
	v_lshlrev_b32_e32 v3, 5, v90
	s_delay_alu instid0(VALU_DEP_2)
	v_add_co_u32 v1, s0, s10, v1
	s_wait_alu 0xf1ff
	v_add_co_ci_u32_e64 v2, null, s11, 0, s0
	s_mov_b32 s0, 0xe8584caa
	s_clause 0x3
	global_load_b128 v[56:59], v3, s[10:11] offset:192
	global_load_b128 v[52:55], v3, s[10:11] offset:208
	global_load_b128 v[64:67], v[1:2], off offset:192
	global_load_b128 v[60:63], v[1:2], off offset:208
	ds_load_b128 v[1:4], v164 offset:7392
	ds_load_b128 v[5:8], v164 offset:14784
	ds_load_b128 v[9:12], v164 offset:11088
	ds_load_b128 v[13:16], v164 offset:18480
	s_mov_b32 s1, 0x3febb67a
	s_wait_alu 0xfffe
	s_mov_b32 s12, s0
	s_wait_loadcnt_dscnt 0x303
	v_mul_f64_e32 v[17:18], v[3:4], v[58:59]
	s_wait_loadcnt_dscnt 0x202
	v_mul_f64_e32 v[19:20], v[7:8], v[54:55]
	v_mul_f64_e32 v[21:22], v[1:2], v[58:59]
	v_mul_f64_e32 v[48:49], v[5:6], v[54:55]
	s_wait_loadcnt_dscnt 0x101
	v_mul_f64_e32 v[50:51], v[11:12], v[66:67]
	s_wait_loadcnt_dscnt 0x0
	v_mul_f64_e32 v[68:69], v[15:16], v[62:63]
	v_mul_f64_e32 v[70:71], v[9:10], v[66:67]
	;; [unrolled: 1-line block ×3, first 2 shown]
	v_fma_f64 v[17:18], v[1:2], v[56:57], -v[17:18]
	v_fma_f64 v[19:20], v[5:6], v[52:53], -v[19:20]
	v_fma_f64 v[21:22], v[3:4], v[56:57], v[21:22]
	v_fma_f64 v[48:49], v[7:8], v[52:53], v[48:49]
	v_fma_f64 v[9:10], v[9:10], v[64:65], -v[50:51]
	v_fma_f64 v[13:14], v[13:14], v[60:61], -v[68:69]
	v_fma_f64 v[11:12], v[11:12], v[64:65], v[70:71]
	v_fma_f64 v[15:16], v[15:16], v[60:61], v[72:73]
	ds_load_b128 v[1:4], v164
	ds_load_b128 v[5:8], v164 offset:3696
	s_wait_dscnt 0x1
	v_add_f64_e32 v[74:75], v[1:2], v[17:18]
	v_add_f64_e32 v[50:51], v[17:18], v[19:20]
	v_add_f64_e64 v[17:18], v[17:18], -v[19:20]
	v_add_f64_e32 v[68:69], v[21:22], v[48:49]
	v_add_f64_e64 v[76:77], v[21:22], -v[48:49]
	v_add_f64_e32 v[70:71], v[9:10], v[13:14]
	v_add_f64_e32 v[21:22], v[3:4], v[21:22]
	v_add_f64_e32 v[72:73], v[11:12], v[15:16]
	s_wait_dscnt 0x0
	v_add_f64_e32 v[78:79], v[5:6], v[9:10]
	v_add_f64_e32 v[80:81], v[7:8], v[11:12]
	v_add_f64_e64 v[11:12], v[11:12], -v[15:16]
	v_add_f64_e64 v[9:10], v[9:10], -v[13:14]
	v_add_f64_e32 v[104:105], v[74:75], v[19:20]
	v_fma_f64 v[1:2], v[50:51], -0.5, v[1:2]
	v_fma_f64 v[3:4], v[68:69], -0.5, v[3:4]
	;; [unrolled: 1-line block ×3, first 2 shown]
	v_add_f64_e32 v[106:107], v[21:22], v[48:49]
	v_fma_f64 v[7:8], v[72:73], -0.5, v[7:8]
	v_add_f64_e32 v[84:85], v[78:79], v[13:14]
	v_add_f64_e32 v[86:87], v[80:81], v[15:16]
	v_fma_f64 v[72:73], v[76:77], s[0:1], v[1:2]
	s_wait_alu 0xfffe
	v_fma_f64 v[80:81], v[76:77], s[12:13], v[1:2]
	v_fma_f64 v[74:75], v[17:18], s[12:13], v[3:4]
	;; [unrolled: 1-line block ×7, first 2 shown]
	v_and_b32_e32 v1, 0xffff, v88
	v_mad_u16 v2, v23, 42, v89
	v_add_co_u32 v140, s0, s8, v164
	s_wait_alu 0xf1ff
	v_add_co_ci_u32_e64 v141, null, s9, 0, s0
	v_mul_u32_u24_e32 v3, 42, v1
	v_and_b32_e32 v4, 0xffff, v2
	v_lshlrev_b32_e32 v1, 1, v120
	v_cmp_gt_u16_e64 s0, 0x7e, v120
                                        ; implicit-def: $vgpr88_vgpr89
	s_delay_alu instid0(VALU_DEP_4)
	v_add_lshl_u32 v2, v3, v90, 4
	scratch_store_b32 off, v1, off offset:132 ; 4-byte Folded Spill
	v_lshlrev_b32_e32 v1, 4, v4
	global_wb scope:SCOPE_SE
	s_wait_storecnt 0x0
	s_barrier_signal -1
	s_barrier_wait -1
	global_inv scope:SCOPE_SE
	ds_store_b128 v2, v[104:107]
	ds_store_b128 v2, v[72:75] offset:224
	scratch_store_b32 off, v2, off offset:128 ; 4-byte Folded Spill
	ds_store_b128 v2, v[80:83] offset:448
	ds_store_b128 v1, v[84:87]
	ds_store_b128 v1, v[96:99] offset:224
	scratch_store_b32 off, v1, off offset:124 ; 4-byte Folded Spill
	ds_store_b128 v1, v[112:115] offset:448
	global_wb scope:SCOPE_SE
	s_wait_storecnt_dscnt 0x0
	s_barrier_signal -1
	s_barrier_wait -1
	global_inv scope:SCOPE_SE
	s_and_saveexec_b32 s1, s0
	s_cbranch_execz .LBB0_7
; %bb.6:
	ds_load_b128 v[104:107], v164
	ds_load_b128 v[72:75], v164 offset:2016
	ds_load_b128 v[80:83], v164 offset:4032
	;; [unrolled: 1-line block ×10, first 2 shown]
.LBB0_7:
	s_wait_alu 0xfffe
	s_or_b32 exec_lo, exec_lo, s1
	v_mul_lo_u16 v0, v0, 49
	s_mov_b32 s26, 0xf8bb580b
	s_mov_b32 s27, 0xbfe14ced
	;; [unrolled: 1-line block ×4, first 2 shown]
	v_lshrrev_b16 v255, 10, v0
	s_mov_b32 s23, 0xbfed1bb4
	s_mov_b32 s22, 0x8eee2c13
	;; [unrolled: 1-line block ×4, first 2 shown]
	v_mul_lo_u16 v0, v255, 42
	s_mov_b32 s24, 0x43842ef
	s_mov_b32 s25, 0xbfefac9e
	s_mov_b32 s16, 0x640f44db
	s_mov_b32 s17, 0xbfc2375f
	v_sub_nc_u16 v0, v120, v0
	s_mov_b32 s28, 0xbb3a28a1
	s_mov_b32 s29, 0xbfe82f19
	;; [unrolled: 1-line block ×4, first 2 shown]
	v_and_b32_e32 v0, 0xff, v0
	scratch_store_b32 off, v120, off offset:8 ; 4-byte Folded Spill
	s_mov_b32 s30, 0xfd768dbf
	s_mov_b32 s31, 0xbfd207e7
	;; [unrolled: 1-line block ×3, first 2 shown]
	scratch_store_b32 off, v0, off offset:108 ; 4-byte Folded Spill
	v_mad_co_u64_u32 v[0:1], null, 0xa0, v0, s[10:11]
	s_mov_b32 s21, 0xbfeeb42a
	s_mov_b32 s35, 0x3fd207e7
	;; [unrolled: 1-line block ×5, first 2 shown]
	s_clause 0x1
	global_load_b128 v[48:51], v[0:1], off offset:640
	global_load_b128 v[68:71], v[0:1], off offset:656
	s_mov_b32 s39, 0x3fe14ced
	s_mov_b32 s38, s26
	s_wait_loadcnt_dscnt 0x109
	v_mul_f64_e32 v[2:3], v[72:73], v[50:51]
	s_delay_alu instid0(VALU_DEP_1) | instskip(SKIP_1) | instid1(VALU_DEP_1)
	v_fma_f64 v[167:168], v[74:75], v[48:49], v[2:3]
	v_mul_f64_e32 v[2:3], v[74:75], v[50:51]
	v_fma_f64 v[169:170], v[72:73], v[48:49], -v[2:3]
	s_clause 0x1
	global_load_b128 v[72:75], v[0:1], off offset:784
	global_load_b128 v[76:79], v[0:1], off offset:768
	s_wait_loadcnt_dscnt 0x100
	v_mul_f64_e32 v[2:3], v[92:93], v[74:75]
	s_delay_alu instid0(VALU_DEP_1) | instskip(SKIP_1) | instid1(VALU_DEP_2)
	v_fma_f64 v[4:5], v[94:95], v[72:73], v[2:3]
	v_mul_f64_e32 v[2:3], v[94:95], v[74:75]
	v_add_f64_e64 v[6:7], v[167:168], -v[4:5]
	s_delay_alu instid0(VALU_DEP_2) | instskip(SKIP_2) | instid1(VALU_DEP_4)
	v_fma_f64 v[10:11], v[92:93], v[72:73], -v[2:3]
	v_mul_f64_e32 v[2:3], v[80:81], v[70:71]
	v_add_f64_e32 v[241:242], v[167:168], v[4:5]
	v_mul_f64_e32 v[235:236], s[26:27], v[6:7]
	s_delay_alu instid0(VALU_DEP_4) | instskip(NEXT) | instid1(VALU_DEP_4)
	v_add_f64_e32 v[237:238], v[169:170], v[10:11]
	v_fma_f64 v[18:19], v[82:83], v[68:69], v[2:3]
	v_mul_f64_e32 v[2:3], v[82:83], v[70:71]
	v_add_f64_e64 v[12:13], v[169:170], -v[10:11]
	v_mul_f64_e32 v[146:147], s[28:29], v[6:7]
	v_mul_f64_e32 v[150:151], s[30:31], v[6:7]
	s_delay_alu instid0(VALU_DEP_4)
	v_fma_f64 v[20:21], v[80:81], v[68:69], -v[2:3]
	s_wait_loadcnt 0x0
	v_mul_f64_e32 v[2:3], v[88:89], v[78:79]
	v_mul_f64_e32 v[239:240], s[26:27], v[12:13]
	;; [unrolled: 1-line block ×4, first 2 shown]
	s_delay_alu instid0(VALU_DEP_4) | instskip(SKIP_1) | instid1(VALU_DEP_2)
	v_fma_f64 v[16:17], v[90:91], v[76:77], v[2:3]
	v_mul_f64_e32 v[2:3], v[90:91], v[78:79]
	v_add_f64_e64 v[8:9], v[18:19], -v[16:17]
	s_delay_alu instid0(VALU_DEP_2)
	v_fma_f64 v[14:15], v[88:89], v[76:77], -v[2:3]
	s_clause 0x1
	global_load_b128 v[80:83], v[0:1], off offset:672
	global_load_b128 v[88:91], v[0:1], off offset:688
	v_add_f64_e32 v[177:178], v[18:19], v[16:17]
	v_mul_f64_e32 v[203:204], s[28:29], v[8:9]
	v_add_f64_e32 v[173:174], v[20:21], v[14:15]
	v_mul_f64_e32 v[213:214], s[34:35], v[8:9]
	v_mul_f64_e32 v[243:244], s[36:37], v[8:9]
	s_wait_loadcnt 0x1
	v_mul_f64_e32 v[2:3], v[84:85], v[82:83]
	s_delay_alu instid0(VALU_DEP_1) | instskip(SKIP_1) | instid1(VALU_DEP_1)
	v_fma_f64 v[154:155], v[86:87], v[80:81], v[2:3]
	v_mul_f64_e32 v[2:3], v[86:87], v[82:83]
	v_fma_f64 v[156:157], v[84:85], v[80:81], -v[2:3]
	s_clause 0x1
	global_load_b128 v[84:87], v[0:1], off offset:752
	global_load_b128 v[92:95], v[0:1], off offset:736
	s_wait_loadcnt 0x1
	v_mul_f64_e32 v[2:3], v[116:117], v[86:87]
	s_delay_alu instid0(VALU_DEP_1) | instskip(SKIP_1) | instid1(VALU_DEP_2)
	v_fma_f64 v[158:159], v[118:119], v[84:85], v[2:3]
	v_mul_f64_e32 v[2:3], v[118:119], v[86:87]
	v_add_f64_e32 v[185:186], v[154:155], v[158:159]
	s_delay_alu instid0(VALU_DEP_2) | instskip(SKIP_1) | instid1(VALU_DEP_2)
	v_fma_f64 v[116:117], v[116:117], v[84:85], -v[2:3]
	v_mul_f64_e32 v[2:3], v[96:97], v[90:91]
	v_add_f64_e32 v[181:182], v[156:157], v[116:117]
	s_delay_alu instid0(VALU_DEP_2) | instskip(SKIP_2) | instid1(VALU_DEP_2)
	v_fma_f64 v[162:163], v[98:99], v[88:89], v[2:3]
	v_mul_f64_e32 v[2:3], v[98:99], v[90:91]
	v_add_f64_e64 v[136:137], v[156:157], -v[116:117]
	v_fma_f64 v[165:166], v[96:97], v[88:89], -v[2:3]
	s_wait_loadcnt 0x0
	v_mul_f64_e32 v[2:3], v[100:101], v[94:95]
	s_delay_alu instid0(VALU_DEP_3)
	v_mul_f64_e32 v[183:184], s[24:25], v[136:137]
	v_mul_f64_e32 v[215:216], s[34:35], v[136:137]
	;; [unrolled: 1-line block ×4, first 2 shown]
	v_fma_f64 v[118:119], v[102:103], v[92:93], v[2:3]
	v_mul_f64_e32 v[2:3], v[102:103], v[94:95]
	s_delay_alu instid0(VALU_DEP_2) | instskip(NEXT) | instid1(VALU_DEP_2)
	v_add_f64_e64 v[138:139], v[162:163], -v[118:119]
	v_fma_f64 v[160:161], v[100:101], v[92:93], -v[2:3]
	s_clause 0x1
	global_load_b128 v[96:99], v[0:1], off offset:704
	global_load_b128 v[100:103], v[0:1], off offset:720
	v_mul_f64_e32 v[2:3], s[22:23], v[8:9]
	v_add_f64_e32 v[193:194], v[162:163], v[118:119]
	s_clause 0x1
	scratch_store_b64 off, v[10:11], off offset:152
	scratch_store_b64 off, v[4:5], off offset:144
	v_mul_f64_e32 v[10:11], s[22:23], v[12:13]
	v_mul_f64_e32 v[187:188], s[28:29], v[138:139]
	v_add_f64_e32 v[189:190], v[165:166], v[160:161]
	v_mul_f64_e32 v[209:210], s[36:37], v[138:139]
	scratch_store_b64 off, v[2:3], off offset:192 ; 8-byte Folded Spill
	s_wait_alu 0xfffe
	v_fma_f64 v[2:3], v[173:174], s[12:13], v[2:3]
	s_clause 0x1
	scratch_store_b64 off, v[14:15], off offset:168
	scratch_store_b64 off, v[20:21], off offset:184
	v_add_f64_e64 v[14:15], v[20:21], -v[14:15]
	s_clause 0x1
	scratch_store_b64 off, v[16:17], off offset:160
	scratch_store_b64 off, v[18:19], off offset:176
	v_add_f64_e64 v[20:21], v[154:155], -v[158:159]
	v_mul_f64_e32 v[18:19], s[24:25], v[12:13]
	v_mul_f64_e32 v[227:228], s[26:27], v[138:139]
	;; [unrolled: 1-line block ×10, first 2 shown]
	scratch_store_b64 off, v[4:5], off offset:200 ; 8-byte Folded Spill
	v_fma_f64 v[4:5], v[177:178], s[12:13], -v[4:5]
	v_fma_f64 v[16:17], v[177:178], s[18:19], -v[207:208]
	;; [unrolled: 1-line block ×4, first 2 shown]
	s_wait_loadcnt 0x1
	v_mul_f64_e32 v[0:1], v[114:115], v[98:99]
	s_delay_alu instid0(VALU_DEP_1) | instskip(SKIP_1) | instid1(VALU_DEP_1)
	v_fma_f64 v[171:172], v[112:113], v[96:97], -v[0:1]
	v_mul_f64_e32 v[0:1], v[112:113], v[98:99]
	v_fma_f64 v[114:115], v[114:115], v[96:97], v[0:1]
	s_wait_loadcnt 0x0
	v_mul_f64_e32 v[0:1], v[110:111], v[102:103]
	s_delay_alu instid0(VALU_DEP_1) | instskip(SKIP_1) | instid1(VALU_DEP_2)
	v_fma_f64 v[112:113], v[108:109], v[100:101], -v[0:1]
	v_mul_f64_e32 v[0:1], v[108:109], v[102:103]
	v_add_f64_e32 v[197:198], v[171:172], v[112:113]
	s_delay_alu instid0(VALU_DEP_2) | instskip(SKIP_3) | instid1(VALU_DEP_4)
	v_fma_f64 v[108:109], v[110:111], v[100:101], v[0:1]
	v_fma_f64 v[0:1], v[237:238], s[14:15], v[235:236]
	v_add_f64_e64 v[110:111], v[165:166], -v[160:161]
	v_add_f64_e64 v[179:180], v[171:172], -v[112:113]
	v_add_f64_e64 v[175:176], v[114:115], -v[108:109]
	s_delay_alu instid0(VALU_DEP_4) | instskip(NEXT) | instid1(VALU_DEP_4)
	v_add_f64_e32 v[0:1], v[104:105], v[0:1]
	v_mul_f64_e32 v[191:192], s[28:29], v[110:111]
	v_add_f64_e32 v[201:202], v[114:115], v[108:109]
	v_mul_f64_e32 v[199:200], s[30:31], v[179:180]
	v_mul_f64_e32 v[217:218], s[36:37], v[110:111]
	;; [unrolled: 1-line block ×6, first 2 shown]
	v_add_f64_e32 v[0:1], v[2:3], v[0:1]
	v_fma_f64 v[2:3], v[241:242], s[14:15], -v[239:240]
	v_mul_f64_e32 v[211:212], s[38:39], v[175:176]
	v_mul_f64_e32 v[221:222], s[28:29], v[175:176]
	s_delay_alu instid0(VALU_DEP_3) | instskip(NEXT) | instid1(VALU_DEP_1)
	v_add_f64_e32 v[2:3], v[106:107], v[2:3]
	v_add_f64_e32 v[2:3], v[4:5], v[2:3]
	v_mul_f64_e32 v[4:5], s[24:25], v[20:21]
	scratch_store_b64 off, v[4:5], off offset:208 ; 8-byte Folded Spill
	v_fma_f64 v[4:5], v[181:182], s[16:17], v[4:5]
	global_wb scope:SCOPE_SE
	s_wait_storecnt 0x0
	s_barrier_signal -1
	s_barrier_wait -1
	global_inv scope:SCOPE_SE
	v_add_f64_e32 v[0:1], v[4:5], v[0:1]
	v_fma_f64 v[4:5], v[185:186], s[16:17], -v[183:184]
	s_delay_alu instid0(VALU_DEP_1) | instskip(SKIP_1) | instid1(VALU_DEP_1)
	v_add_f64_e32 v[2:3], v[4:5], v[2:3]
	v_fma_f64 v[4:5], v[189:190], s[18:19], v[187:188]
	v_add_f64_e32 v[0:1], v[4:5], v[0:1]
	v_fma_f64 v[4:5], v[193:194], s[18:19], -v[191:192]
	s_delay_alu instid0(VALU_DEP_1) | instskip(SKIP_1) | instid1(VALU_DEP_1)
	v_add_f64_e32 v[2:3], v[4:5], v[2:3]
	v_fma_f64 v[4:5], v[197:198], s[20:21], v[195:196]
	v_add_f64_e32 v[120:121], v[4:5], v[0:1]
	v_fma_f64 v[0:1], v[201:202], s[20:21], -v[199:200]
	v_mul_f64_e32 v[4:5], s[22:23], v[6:7]
	s_mov_b32 s23, 0x3fed1bb4
	s_wait_alu 0xfffe
	v_mul_f64_e32 v[219:220], s[22:23], v[20:21]
	v_mul_f64_e32 v[229:230], s[22:23], v[136:137]
	;; [unrolled: 1-line block ×4, first 2 shown]
	v_add_f64_e32 v[122:123], v[0:1], v[2:3]
	v_fma_f64 v[0:1], v[237:238], s[12:13], v[4:5]
	v_fma_f64 v[2:3], v[173:174], s[18:19], v[203:204]
	s_delay_alu instid0(VALU_DEP_2) | instskip(NEXT) | instid1(VALU_DEP_1)
	v_add_f64_e32 v[0:1], v[104:105], v[0:1]
	v_add_f64_e32 v[0:1], v[2:3], v[0:1]
	v_fma_f64 v[2:3], v[241:242], s[12:13], -v[10:11]
	s_delay_alu instid0(VALU_DEP_1) | instskip(NEXT) | instid1(VALU_DEP_1)
	v_add_f64_e32 v[2:3], v[106:107], v[2:3]
	v_add_f64_e32 v[2:3], v[16:17], v[2:3]
	v_fma_f64 v[16:17], v[181:182], s[20:21], v[205:206]
	s_delay_alu instid0(VALU_DEP_1) | instskip(SKIP_1) | instid1(VALU_DEP_1)
	v_add_f64_e32 v[0:1], v[16:17], v[0:1]
	v_fma_f64 v[16:17], v[185:186], s[20:21], -v[215:216]
	v_add_f64_e32 v[2:3], v[16:17], v[2:3]
	v_fma_f64 v[16:17], v[189:190], s[16:17], v[209:210]
	s_delay_alu instid0(VALU_DEP_1) | instskip(SKIP_1) | instid1(VALU_DEP_1)
	v_add_f64_e32 v[0:1], v[16:17], v[0:1]
	v_fma_f64 v[16:17], v[193:194], s[16:17], -v[217:218]
	v_add_f64_e32 v[2:3], v[16:17], v[2:3]
	v_fma_f64 v[16:17], v[197:198], s[14:15], v[211:212]
	s_delay_alu instid0(VALU_DEP_1) | instskip(SKIP_3) | instid1(VALU_DEP_3)
	v_add_f64_e32 v[124:125], v[16:17], v[0:1]
	v_fma_f64 v[0:1], v[201:202], s[14:15], -v[223:224]
	v_mul_f64_e32 v[16:17], s[24:25], v[6:7]
	v_fma_f64 v[6:7], v[237:238], s[20:21], v[150:151]
	v_add_f64_e32 v[126:127], v[0:1], v[2:3]
	s_delay_alu instid0(VALU_DEP_3) | instskip(SKIP_1) | instid1(VALU_DEP_4)
	v_fma_f64 v[0:1], v[237:238], s[16:17], v[16:17]
	v_fma_f64 v[2:3], v[173:174], s[20:21], v[213:214]
	v_add_f64_e32 v[6:7], v[104:105], v[6:7]
	s_delay_alu instid0(VALU_DEP_3) | instskip(NEXT) | instid1(VALU_DEP_1)
	v_add_f64_e32 v[0:1], v[104:105], v[0:1]
	v_add_f64_e32 v[0:1], v[2:3], v[0:1]
	v_fma_f64 v[2:3], v[241:242], s[16:17], -v[18:19]
	s_delay_alu instid0(VALU_DEP_1) | instskip(NEXT) | instid1(VALU_DEP_1)
	v_add_f64_e32 v[2:3], v[106:107], v[2:3]
	v_add_f64_e32 v[2:3], v[22:23], v[2:3]
	v_fma_f64 v[22:23], v[181:182], s[12:13], v[219:220]
	s_delay_alu instid0(VALU_DEP_1) | instskip(SKIP_1) | instid1(VALU_DEP_1)
	v_add_f64_e32 v[0:1], v[22:23], v[0:1]
	v_fma_f64 v[22:23], v[185:186], s[12:13], -v[229:230]
	v_add_f64_e32 v[2:3], v[22:23], v[2:3]
	v_fma_f64 v[22:23], v[189:190], s[14:15], v[227:228]
	s_delay_alu instid0(VALU_DEP_1) | instskip(SKIP_1) | instid1(VALU_DEP_1)
	v_add_f64_e32 v[0:1], v[22:23], v[0:1]
	v_fma_f64 v[22:23], v[193:194], s[14:15], -v[231:232]
	v_add_f64_e32 v[2:3], v[22:23], v[2:3]
	v_fma_f64 v[22:23], v[197:198], s[18:19], v[221:222]
	s_delay_alu instid0(VALU_DEP_1) | instskip(SKIP_2) | instid1(VALU_DEP_2)
	v_add_f64_e32 v[128:129], v[22:23], v[0:1]
	v_fma_f64 v[0:1], v[201:202], s[18:19], -v[233:234]
	v_fma_f64 v[22:23], v[177:178], s[16:17], -v[251:252]
	v_add_f64_e32 v[130:131], v[0:1], v[2:3]
	v_fma_f64 v[0:1], v[237:238], s[18:19], v[146:147]
	v_fma_f64 v[2:3], v[173:174], s[16:17], v[243:244]
	s_delay_alu instid0(VALU_DEP_2) | instskip(NEXT) | instid1(VALU_DEP_1)
	v_add_f64_e32 v[0:1], v[104:105], v[0:1]
	v_add_f64_e32 v[0:1], v[2:3], v[0:1]
	v_fma_f64 v[2:3], v[241:242], s[18:19], -v[148:149]
	s_delay_alu instid0(VALU_DEP_1) | instskip(NEXT) | instid1(VALU_DEP_1)
	v_add_f64_e32 v[2:3], v[106:107], v[2:3]
	v_add_f64_e32 v[2:3], v[22:23], v[2:3]
	v_fma_f64 v[22:23], v[181:182], s[14:15], v[245:246]
	s_delay_alu instid0(VALU_DEP_1) | instskip(SKIP_1) | instid1(VALU_DEP_1)
	v_add_f64_e32 v[0:1], v[22:23], v[0:1]
	v_fma_f64 v[22:23], v[185:186], s[14:15], -v[253:254]
	v_add_f64_e32 v[2:3], v[22:23], v[2:3]
	v_fma_f64 v[22:23], v[189:190], s[20:21], v[249:250]
	s_delay_alu instid0(VALU_DEP_1) | instskip(SKIP_1) | instid1(VALU_DEP_1)
	v_add_f64_e32 v[22:23], v[22:23], v[0:1]
	v_mul_f64_e32 v[0:1], s[30:31], v[110:111]
	v_fma_f64 v[132:133], v[193:194], s[20:21], -v[0:1]
	s_delay_alu instid0(VALU_DEP_1) | instskip(SKIP_1) | instid1(VALU_DEP_1)
	v_add_f64_e32 v[134:135], v[132:133], v[2:3]
	v_fma_f64 v[2:3], v[197:198], s[12:13], v[247:248]
	v_add_f64_e32 v[132:133], v[2:3], v[22:23]
	v_mul_f64_e32 v[2:3], s[22:23], v[179:180]
	s_delay_alu instid0(VALU_DEP_1) | instskip(NEXT) | instid1(VALU_DEP_1)
	v_fma_f64 v[22:23], v[201:202], s[12:13], -v[2:3]
	v_add_f64_e32 v[134:135], v[22:23], v[134:135]
	v_mul_f64_e32 v[22:23], s[38:39], v[8:9]
	s_delay_alu instid0(VALU_DEP_1) | instskip(NEXT) | instid1(VALU_DEP_1)
	v_fma_f64 v[8:9], v[173:174], s[14:15], v[22:23]
	v_add_f64_e32 v[6:7], v[8:9], v[6:7]
	v_fma_f64 v[8:9], v[241:242], s[20:21], -v[152:153]
	s_delay_alu instid0(VALU_DEP_1) | instskip(NEXT) | instid1(VALU_DEP_1)
	v_add_f64_e32 v[8:9], v[106:107], v[8:9]
	v_add_f64_e32 v[8:9], v[12:13], v[8:9]
	v_fma_f64 v[12:13], v[181:182], s[18:19], v[20:21]
	s_delay_alu instid0(VALU_DEP_1) | instskip(SKIP_1) | instid1(VALU_DEP_1)
	v_add_f64_e32 v[6:7], v[12:13], v[6:7]
	v_fma_f64 v[12:13], v[185:186], s[18:19], -v[142:143]
	v_add_f64_e32 v[8:9], v[12:13], v[8:9]
	v_mul_f64_e32 v[12:13], s[22:23], v[138:139]
	s_delay_alu instid0(VALU_DEP_1) | instskip(NEXT) | instid1(VALU_DEP_1)
	v_fma_f64 v[14:15], v[189:190], s[12:13], v[12:13]
	v_add_f64_e32 v[136:137], v[14:15], v[6:7]
	v_mul_f64_e32 v[14:15], s[22:23], v[110:111]
	s_delay_alu instid0(VALU_DEP_1) | instskip(NEXT) | instid1(VALU_DEP_1)
	v_fma_f64 v[6:7], v[193:194], s[12:13], -v[14:15]
	v_add_f64_e32 v[110:111], v[6:7], v[8:9]
	v_mul_f64_e32 v[6:7], s[24:25], v[175:176]
	v_mul_f64_e32 v[8:9], s[24:25], v[179:180]
	s_delay_alu instid0(VALU_DEP_2) | instskip(NEXT) | instid1(VALU_DEP_1)
	v_fma_f64 v[138:139], v[197:198], s[16:17], v[6:7]
	v_add_f64_e32 v[136:137], v[138:139], v[136:137]
	s_delay_alu instid0(VALU_DEP_3) | instskip(NEXT) | instid1(VALU_DEP_1)
	v_fma_f64 v[138:139], v[201:202], s[16:17], -v[8:9]
	v_add_f64_e32 v[138:139], v[138:139], v[110:111]
	v_and_b32_e32 v110, 0xffff, v255
	scratch_load_b32 v255, off, off offset:116 ; 4-byte Folded Reload
	scratch_store_b32 off, v110, off offset:120 ; 4-byte Folded Spill
	s_wait_loadcnt 0x0
	v_add_nc_u32_e32 v179, 0x39c0, v255
	s_and_saveexec_b32 s1, s0
	s_cbranch_execz .LBB0_9
; %bb.8:
	v_mul_f64_e32 v[110:111], s[20:21], v[241:242]
	v_mul_f64_e32 v[175:176], s[14:15], v[237:238]
	v_add_f64_e32 v[167:168], v[106:107], v[167:168]
	v_add_f64_e32 v[169:170], v[104:105], v[169:170]
	s_delay_alu instid0(VALU_DEP_4) | instskip(SKIP_3) | instid1(VALU_DEP_4)
	v_add_f64_e32 v[110:111], v[152:153], v[110:111]
	v_mul_f64_e32 v[152:153], s[20:21], v[237:238]
	v_add_f64_e64 v[175:176], v[175:176], -v[235:236]
	v_mov_b32_e32 v235, v179
	v_add_f64_e32 v[110:111], v[106:107], v[110:111]
	s_delay_alu instid0(VALU_DEP_4) | instskip(SKIP_1) | instid1(VALU_DEP_2)
	v_add_f64_e64 v[150:151], v[152:153], -v[150:151]
	v_mul_f64_e32 v[152:153], s[18:19], v[241:242]
	v_add_f64_e32 v[150:151], v[104:105], v[150:151]
	s_delay_alu instid0(VALU_DEP_2) | instskip(SKIP_1) | instid1(VALU_DEP_2)
	v_add_f64_e32 v[148:149], v[148:149], v[152:153]
	v_mul_f64_e32 v[152:153], s[18:19], v[237:238]
	v_add_f64_e32 v[148:149], v[106:107], v[148:149]
	s_delay_alu instid0(VALU_DEP_2) | instskip(SKIP_1) | instid1(VALU_DEP_2)
	v_add_f64_e64 v[146:147], v[152:153], -v[146:147]
	v_mul_f64_e32 v[152:153], s[16:17], v[241:242]
	v_add_f64_e32 v[146:147], v[104:105], v[146:147]
	s_delay_alu instid0(VALU_DEP_2) | instskip(SKIP_1) | instid1(VALU_DEP_2)
	v_add_f64_e32 v[18:19], v[18:19], v[152:153]
	v_mul_f64_e32 v[152:153], s[12:13], v[241:242]
	v_add_f64_e32 v[18:19], v[106:107], v[18:19]
	s_delay_alu instid0(VALU_DEP_2) | instskip(SKIP_1) | instid1(VALU_DEP_2)
	v_add_f64_e32 v[10:11], v[10:11], v[152:153]
	v_mul_f64_e32 v[152:153], s[12:13], v[237:238]
	v_add_f64_e32 v[10:11], v[106:107], v[10:11]
	s_delay_alu instid0(VALU_DEP_2) | instskip(SKIP_1) | instid1(VALU_DEP_2)
	v_add_f64_e64 v[4:5], v[152:153], -v[4:5]
	v_mul_f64_e32 v[152:153], s[16:17], v[237:238]
	v_add_f64_e32 v[179:180], v[104:105], v[4:5]
	v_mul_f64_e32 v[4:5], s[14:15], v[177:178]
	s_delay_alu instid0(VALU_DEP_3) | instskip(SKIP_1) | instid1(VALU_DEP_3)
	v_add_f64_e64 v[16:17], v[152:153], -v[16:17]
	v_mul_f64_e32 v[152:153], s[14:15], v[241:242]
	v_add_f64_e32 v[4:5], v[144:145], v[4:5]
	v_mul_f64_e32 v[144:145], s[14:15], v[173:174]
	s_delay_alu instid0(VALU_DEP_4) | instskip(NEXT) | instid1(VALU_DEP_4)
	v_add_f64_e32 v[16:17], v[104:105], v[16:17]
	v_add_f64_e32 v[152:153], v[239:240], v[152:153]
	;; [unrolled: 1-line block ×4, first 2 shown]
	v_add_f64_e64 v[22:23], v[144:145], -v[22:23]
	v_mul_f64_e32 v[144:145], s[18:19], v[185:186]
	v_mul_f64_e32 v[110:111], s[16:17], v[201:202]
	v_add_f64_e32 v[106:107], v[106:107], v[152:153]
	s_delay_alu instid0(VALU_DEP_4) | instskip(NEXT) | instid1(VALU_DEP_4)
	v_add_f64_e32 v[22:23], v[22:23], v[150:151]
	v_add_f64_e32 v[142:143], v[142:143], v[144:145]
	v_mul_f64_e32 v[144:145], s[18:19], v[181:182]
	v_add_f64_e32 v[8:9], v[8:9], v[110:111]
	v_mul_f64_e32 v[110:111], s[12:13], v[201:202]
	s_delay_alu instid0(VALU_DEP_4) | instskip(NEXT) | instid1(VALU_DEP_4)
	v_add_f64_e32 v[4:5], v[142:143], v[4:5]
	v_add_f64_e64 v[20:21], v[144:145], -v[20:21]
	v_mul_f64_e32 v[144:145], s[12:13], v[193:194]
	s_delay_alu instid0(VALU_DEP_4)
	v_add_f64_e32 v[2:3], v[2:3], v[110:111]
	v_mul_f64_e32 v[110:111], s[16:17], v[189:190]
	v_mul_f64_e32 v[142:143], s[14:15], v[189:190]
	v_add_f64_e32 v[20:21], v[20:21], v[22:23]
	v_add_f64_e32 v[14:15], v[14:15], v[144:145]
	v_mul_f64_e32 v[144:145], s[12:13], v[189:190]
	v_mul_f64_e32 v[22:23], s[16:17], v[197:198]
	v_add_f64_e64 v[110:111], v[110:111], -v[209:210]
	v_add_f64_e64 v[142:143], v[142:143], -v[227:228]
	v_add_f64_e32 v[4:5], v[14:15], v[4:5]
	v_add_f64_e64 v[12:13], v[144:145], -v[12:13]
	v_add_f64_e64 v[22:23], v[22:23], -v[6:7]
	v_mul_f64_e32 v[14:15], s[14:15], v[185:186]
	s_delay_alu instid0(VALU_DEP_4) | instskip(NEXT) | instid1(VALU_DEP_4)
	v_add_f64_e32 v[6:7], v[8:9], v[4:5]
	v_add_f64_e32 v[12:13], v[12:13], v[20:21]
	v_mul_f64_e32 v[8:9], s[16:17], v[177:178]
	v_mul_f64_e32 v[20:21], s[14:15], v[181:182]
	v_add_f64_e32 v[14:15], v[253:254], v[14:15]
	s_delay_alu instid0(VALU_DEP_4) | instskip(SKIP_4) | instid1(VALU_DEP_4)
	v_add_f64_e32 v[4:5], v[22:23], v[12:13]
	v_mul_f64_e32 v[12:13], s[16:17], v[173:174]
	v_add_f64_e32 v[8:9], v[251:252], v[8:9]
	v_mul_f64_e32 v[22:23], s[20:21], v[193:194]
	v_add_f64_e64 v[20:21], v[20:21], -v[245:246]
	v_add_f64_e64 v[12:13], v[12:13], -v[243:244]
	s_delay_alu instid0(VALU_DEP_4) | instskip(NEXT) | instid1(VALU_DEP_4)
	v_add_f64_e32 v[8:9], v[8:9], v[148:149]
	v_add_f64_e32 v[0:1], v[0:1], v[22:23]
	v_mul_f64_e32 v[22:23], s[20:21], v[189:190]
	s_delay_alu instid0(VALU_DEP_4) | instskip(NEXT) | instid1(VALU_DEP_4)
	v_add_f64_e32 v[12:13], v[12:13], v[146:147]
	v_add_f64_e32 v[8:9], v[14:15], v[8:9]
	v_mul_f64_e32 v[14:15], s[12:13], v[197:198]
	s_delay_alu instid0(VALU_DEP_4) | instskip(NEXT) | instid1(VALU_DEP_4)
	v_add_f64_e64 v[22:23], v[22:23], -v[249:250]
	v_add_f64_e32 v[12:13], v[20:21], v[12:13]
	s_delay_alu instid0(VALU_DEP_4) | instskip(NEXT) | instid1(VALU_DEP_4)
	v_add_f64_e32 v[0:1], v[0:1], v[8:9]
	v_add_f64_e64 v[14:15], v[14:15], -v[247:248]
	v_mul_f64_e32 v[20:21], s[20:21], v[181:182]
	s_delay_alu instid0(VALU_DEP_4) | instskip(NEXT) | instid1(VALU_DEP_4)
	v_add_f64_e32 v[8:9], v[22:23], v[12:13]
	v_add_f64_e32 v[2:3], v[2:3], v[0:1]
	v_mul_f64_e32 v[12:13], s[18:19], v[173:174]
	s_delay_alu instid0(VALU_DEP_4)
	v_add_f64_e64 v[20:21], v[20:21], -v[205:206]
	v_mul_f64_e32 v[22:23], s[16:17], v[193:194]
	v_add_f64_e32 v[0:1], v[14:15], v[8:9]
	v_mul_f64_e32 v[8:9], s[18:19], v[177:178]
	v_add_f64_e64 v[12:13], v[12:13], -v[203:204]
	v_mul_f64_e32 v[14:15], s[20:21], v[185:186]
	v_add_f64_e32 v[22:23], v[217:218], v[22:23]
	s_delay_alu instid0(VALU_DEP_4) | instskip(NEXT) | instid1(VALU_DEP_3)
	v_add_f64_e32 v[8:9], v[207:208], v[8:9]
	v_add_f64_e32 v[14:15], v[215:216], v[14:15]
	s_delay_alu instid0(VALU_DEP_2) | instskip(SKIP_3) | instid1(VALU_DEP_4)
	v_add_f64_e32 v[8:9], v[8:9], v[10:11]
	v_add_f64_e32 v[10:11], v[12:13], v[179:180]
	v_mul_f64_e32 v[12:13], s[14:15], v[201:202]
	v_mov_b32_e32 v179, v235
	v_add_f64_e32 v[8:9], v[14:15], v[8:9]
	s_delay_alu instid0(VALU_DEP_4) | instskip(SKIP_2) | instid1(VALU_DEP_4)
	v_add_f64_e32 v[10:11], v[20:21], v[10:11]
	v_mul_f64_e32 v[14:15], s[14:15], v[197:198]
	v_add_f64_e32 v[12:13], v[223:224], v[12:13]
	v_add_f64_e32 v[8:9], v[22:23], v[8:9]
	s_delay_alu instid0(VALU_DEP_4) | instskip(NEXT) | instid1(VALU_DEP_4)
	v_add_f64_e32 v[20:21], v[110:111], v[10:11]
	v_add_f64_e64 v[14:15], v[14:15], -v[211:212]
	v_mul_f64_e32 v[22:23], s[12:13], v[181:182]
	v_mul_f64_e32 v[110:111], s[14:15], v[193:194]
	v_add_f64_e32 v[10:11], v[12:13], v[8:9]
	v_mul_f64_e32 v[12:13], s[20:21], v[177:178]
	v_add_f64_e32 v[8:9], v[14:15], v[20:21]
	v_mul_f64_e32 v[14:15], s[20:21], v[173:174]
	v_mul_f64_e32 v[20:21], s[12:13], v[185:186]
	v_add_f64_e64 v[22:23], v[22:23], -v[219:220]
	v_add_f64_e32 v[110:111], v[231:232], v[110:111]
	v_add_f64_e32 v[12:13], v[225:226], v[12:13]
	v_add_f64_e64 v[14:15], v[14:15], -v[213:214]
	v_add_f64_e32 v[20:21], v[229:230], v[20:21]
	s_delay_alu instid0(VALU_DEP_3) | instskip(SKIP_1) | instid1(VALU_DEP_4)
	v_add_f64_e32 v[12:13], v[12:13], v[18:19]
	v_mul_f64_e32 v[18:19], s[18:19], v[197:198]
	v_add_f64_e32 v[14:15], v[14:15], v[16:17]
	v_mul_f64_e32 v[16:17], s[18:19], v[201:202]
	s_delay_alu instid0(VALU_DEP_4) | instskip(NEXT) | instid1(VALU_DEP_4)
	v_add_f64_e32 v[12:13], v[20:21], v[12:13]
	v_add_f64_e64 v[18:19], v[18:19], -v[221:222]
	s_delay_alu instid0(VALU_DEP_4) | instskip(NEXT) | instid1(VALU_DEP_4)
	v_add_f64_e32 v[14:15], v[22:23], v[14:15]
	v_add_f64_e32 v[16:17], v[233:234], v[16:17]
	v_mul_f64_e32 v[22:23], s[16:17], v[181:182]
	v_add_f64_e32 v[12:13], v[110:111], v[12:13]
	scratch_load_b64 v[110:111], off, off offset:208 th:TH_LOAD_LU ; 8-byte Folded Reload
	v_add_f64_e32 v[20:21], v[142:143], v[14:15]
	v_mul_f64_e32 v[142:143], s[18:19], v[189:190]
	v_add_f64_e32 v[14:15], v[16:17], v[12:13]
	v_mul_f64_e32 v[16:17], s[12:13], v[177:178]
	s_delay_alu instid0(VALU_DEP_4)
	v_add_f64_e32 v[12:13], v[18:19], v[20:21]
	s_clause 0x1
	scratch_load_b64 v[18:19], off, off offset:200 th:TH_LOAD_LU
	scratch_load_b64 v[20:21], off, off offset:192 th:TH_LOAD_LU
	v_add_f64_e64 v[142:143], v[142:143], -v[187:188]
	s_wait_loadcnt 0x2
	v_add_f64_e64 v[22:23], v[22:23], -v[110:111]
	v_mul_f64_e32 v[110:111], s[18:19], v[193:194]
	s_delay_alu instid0(VALU_DEP_1) | instskip(SKIP_3) | instid1(VALU_DEP_2)
	v_add_f64_e32 v[110:111], v[191:192], v[110:111]
	s_wait_loadcnt 0x1
	v_add_f64_e32 v[16:17], v[18:19], v[16:17]
	v_mul_f64_e32 v[18:19], s[12:13], v[173:174]
	v_add_f64_e32 v[16:17], v[16:17], v[106:107]
	s_wait_loadcnt 0x0
	s_delay_alu instid0(VALU_DEP_2) | instskip(SKIP_1) | instid1(VALU_DEP_2)
	v_add_f64_e64 v[18:19], v[18:19], -v[20:21]
	v_mul_f64_e32 v[20:21], s[16:17], v[185:186]
	v_add_f64_e32 v[18:19], v[18:19], v[104:105]
	s_delay_alu instid0(VALU_DEP_2) | instskip(SKIP_1) | instid1(VALU_DEP_3)
	v_add_f64_e32 v[20:21], v[183:184], v[20:21]
	v_mul_f64_e32 v[104:105], s[20:21], v[201:202]
	v_add_f64_e32 v[18:19], v[22:23], v[18:19]
	s_delay_alu instid0(VALU_DEP_3) | instskip(SKIP_1) | instid1(VALU_DEP_4)
	v_add_f64_e32 v[16:17], v[20:21], v[16:17]
	v_mul_f64_e32 v[20:21], s[20:21], v[197:198]
	v_add_f64_e32 v[104:105], v[199:200], v[104:105]
	s_delay_alu instid0(VALU_DEP_4) | instskip(NEXT) | instid1(VALU_DEP_4)
	v_add_f64_e32 v[22:23], v[142:143], v[18:19]
	v_add_f64_e32 v[16:17], v[110:111], v[16:17]
	s_delay_alu instid0(VALU_DEP_4) | instskip(NEXT) | instid1(VALU_DEP_2)
	v_add_f64_e64 v[20:21], v[20:21], -v[195:196]
	v_add_f64_e32 v[18:19], v[104:105], v[16:17]
	s_delay_alu instid0(VALU_DEP_2)
	v_add_f64_e32 v[16:17], v[20:21], v[22:23]
	s_clause 0x2
	scratch_load_b64 v[20:21], off, off offset:176 th:TH_LOAD_LU
	scratch_load_b64 v[104:105], off, off offset:160 th:TH_LOAD_LU
	scratch_load_b64 v[22:23], off, off offset:184 th:TH_LOAD_LU
	s_wait_loadcnt 0x2
	v_add_f64_e32 v[20:21], v[167:168], v[20:21]
	s_delay_alu instid0(VALU_DEP_1) | instskip(NEXT) | instid1(VALU_DEP_1)
	v_add_f64_e32 v[20:21], v[20:21], v[154:155]
	v_add_f64_e32 v[20:21], v[20:21], v[162:163]
	s_delay_alu instid0(VALU_DEP_1) | instskip(NEXT) | instid1(VALU_DEP_1)
	v_add_f64_e32 v[20:21], v[20:21], v[114:115]
	;; [unrolled: 3-line block ×3, first 2 shown]
	v_add_f64_e32 v[20:21], v[20:21], v[158:159]
	s_wait_loadcnt 0x1
	s_delay_alu instid0(VALU_DEP_1) | instskip(SKIP_3) | instid1(VALU_DEP_1)
	v_add_f64_e32 v[20:21], v[20:21], v[104:105]
	scratch_load_b64 v[104:105], off, off offset:168 th:TH_LOAD_LU ; 8-byte Folded Reload
	s_wait_loadcnt 0x1
	v_add_f64_e32 v[22:23], v[169:170], v[22:23]
	v_add_f64_e32 v[22:23], v[22:23], v[156:157]
	s_delay_alu instid0(VALU_DEP_1) | instskip(NEXT) | instid1(VALU_DEP_1)
	v_add_f64_e32 v[22:23], v[22:23], v[165:166]
	v_add_f64_e32 v[22:23], v[22:23], v[171:172]
	s_delay_alu instid0(VALU_DEP_1) | instskip(NEXT) | instid1(VALU_DEP_1)
	v_add_f64_e32 v[22:23], v[22:23], v[112:113]
	v_add_f64_e32 v[22:23], v[22:23], v[160:161]
	s_delay_alu instid0(VALU_DEP_1) | instskip(SKIP_1) | instid1(VALU_DEP_1)
	v_add_f64_e32 v[22:23], v[22:23], v[116:117]
	s_wait_loadcnt 0x0
	v_add_f64_e32 v[104:105], v[22:23], v[104:105]
	scratch_load_b64 v[22:23], off, off offset:144 th:TH_LOAD_LU ; 8-byte Folded Reload
	s_wait_loadcnt 0x0
	v_add_f64_e32 v[22:23], v[20:21], v[22:23]
	scratch_load_b64 v[20:21], off, off offset:152 th:TH_LOAD_LU ; 8-byte Folded Reload
	s_wait_loadcnt 0x0
	v_add_f64_e32 v[20:21], v[104:105], v[20:21]
	s_clause 0x1
	scratch_load_b32 v104, off, off offset:120
	scratch_load_b32 v105, off, off offset:108
	s_wait_loadcnt 0x1
	v_mul_u32_u24_e32 v104, 0x1ce, v104
	s_wait_loadcnt 0x0
	s_delay_alu instid0(VALU_DEP_1)
	v_add_lshl_u32 v104, v104, v105, 4
	ds_store_b128 v104, v[8:11] offset:1344
	ds_store_b128 v104, v[136:139] offset:4032
	;; [unrolled: 1-line block ×9, first 2 shown]
	ds_store_b128 v104, v[20:23]
	ds_store_b128 v104, v[120:123] offset:6720
.LBB0_9:
	s_wait_alu 0xfffe
	s_or_b32 exec_lo, exec_lo, s1
	global_wb scope:SCOPE_SE
	s_wait_storecnt_dscnt 0x0
	s_barrier_signal -1
	s_barrier_wait -1
	global_inv scope:SCOPE_SE
	s_clause 0x1
	scratch_load_b32 v0, off, off offset:132 th:TH_LOAD_LU
	scratch_load_b32 v177, off, off offset:112 th:TH_LOAD_LU
	s_mov_b32 s13, 0xbfebb67a
	s_add_nc_u64 s[8:9], s[8:9], 0x56a0
	s_wait_loadcnt 0x1
	v_lshlrev_b32_e32 v0, 4, v0
	s_wait_loadcnt 0x0
	s_clause 0x3
	global_load_b128 v[108:111], v177, s[10:11] offset:7360
	global_load_b128 v[104:107], v177, s[10:11] offset:7376
	global_load_b128 v[116:119], v0, s[10:11] offset:7360
	global_load_b128 v[112:115], v0, s[10:11] offset:7376
	ds_load_b128 v[0:3], v164 offset:11088
	ds_load_b128 v[4:7], v164 offset:18480
	;; [unrolled: 1-line block ×4, first 2 shown]
	s_mov_b32 s10, 0xe8584caa
	s_mov_b32 s11, 0x3febb67a
	s_wait_alu 0xfffe
	s_mov_b32 s12, s10
	s_wait_loadcnt_dscnt 0x303
	v_mul_f64_e32 v[16:17], v[2:3], v[110:111]
	v_mul_f64_e32 v[18:19], v[0:1], v[110:111]
	s_wait_loadcnt_dscnt 0x202
	v_mul_f64_e32 v[20:21], v[6:7], v[106:107]
	v_mul_f64_e32 v[22:23], v[4:5], v[106:107]
	s_wait_loadcnt_dscnt 0x101
	v_mul_f64_e32 v[142:143], v[10:11], v[118:119]
	v_mul_f64_e32 v[144:145], v[8:9], v[118:119]
	s_wait_loadcnt_dscnt 0x0
	v_mul_f64_e32 v[146:147], v[14:15], v[114:115]
	v_mul_f64_e32 v[148:149], v[12:13], v[114:115]
	v_fma_f64 v[16:17], v[0:1], v[108:109], -v[16:17]
	v_fma_f64 v[18:19], v[2:3], v[108:109], v[18:19]
	v_fma_f64 v[20:21], v[4:5], v[104:105], -v[20:21]
	v_fma_f64 v[22:23], v[6:7], v[104:105], v[22:23]
	ds_load_b128 v[0:3], v164 offset:3696
	ds_load_b128 v[4:7], v164
	scratch_load_b32 v217, off, off offset:8 ; 4-byte Folded Reload
	v_fma_f64 v[8:9], v[8:9], v[116:117], -v[142:143]
	v_fma_f64 v[10:11], v[10:11], v[116:117], v[144:145]
	v_fma_f64 v[12:13], v[12:13], v[112:113], -v[146:147]
	v_fma_f64 v[14:15], v[14:15], v[112:113], v[148:149]
	s_wait_dscnt 0x1
	v_add_f64_e32 v[150:151], v[0:1], v[16:17]
	v_add_f64_e32 v[142:143], v[16:17], v[20:21]
	;; [unrolled: 1-line block ×3, first 2 shown]
	v_add_f64_e64 v[154:155], v[16:17], -v[20:21]
	v_add_f64_e64 v[152:153], v[18:19], -v[22:23]
	s_wait_dscnt 0x0
	v_add_f64_e32 v[16:17], v[4:5], v[8:9]
	v_add_f64_e32 v[18:19], v[2:3], v[18:19]
	;; [unrolled: 1-line block ×4, first 2 shown]
	v_add_f64_e64 v[156:157], v[10:11], -v[14:15]
	v_add_f64_e32 v[10:11], v[6:7], v[10:11]
	v_add_f64_e64 v[158:159], v[8:9], -v[12:13]
	v_fma_f64 v[142:143], v[142:143], -0.5, v[0:1]
	v_fma_f64 v[144:145], v[144:145], -0.5, v[2:3]
	v_add_f64_e32 v[0:1], v[150:151], v[20:21]
	v_add_f64_e32 v[2:3], v[18:19], v[22:23]
	v_fma_f64 v[146:147], v[146:147], -0.5, v[4:5]
	v_fma_f64 v[148:149], v[148:149], -0.5, v[6:7]
	v_add_f64_e32 v[4:5], v[16:17], v[12:13]
	v_add_f64_e32 v[6:7], v[10:11], v[14:15]
	v_fma_f64 v[8:9], v[152:153], s[10:11], v[142:143]
	s_wait_alu 0xfffe
	v_fma_f64 v[10:11], v[154:155], s[12:13], v[144:145]
	v_fma_f64 v[12:13], v[152:153], s[12:13], v[142:143]
	;; [unrolled: 1-line block ×7, first 2 shown]
	ds_store_b128 v164, v[4:7]
	ds_store_b128 v164, v[0:3] offset:3696
	ds_store_b128 v164, v[16:19] offset:7392
	ds_store_b128 v164, v[8:11] offset:11088
	ds_store_b128 v164, v[20:23] offset:14784
	ds_store_b128 v164, v[12:15] offset:18480
	global_wb scope:SCOPE_SE
	s_wait_loadcnt_dscnt 0x0
	s_barrier_signal -1
	s_barrier_wait -1
	global_inv scope:SCOPE_SE
	v_lshlrev_b32_e32 v142, 4, v217
	s_clause 0x5
	global_load_b128 v[0:3], v[140:141], off offset:22176
	global_load_b128 v[4:7], v142, s[8:9] offset:11088
	global_load_b128 v[8:11], v142, s[8:9] offset:3696
	;; [unrolled: 1-line block ×5, first 2 shown]
	ds_load_b128 v[140:143], v164
	ds_load_b128 v[144:147], v164 offset:11088
	ds_load_b128 v[148:151], v164 offset:3696
	;; [unrolled: 1-line block ×5, first 2 shown]
	s_wait_loadcnt_dscnt 0x505
	v_mul_f64_e32 v[165:166], v[142:143], v[2:3]
	v_mul_f64_e32 v[2:3], v[140:141], v[2:3]
	s_wait_loadcnt_dscnt 0x404
	v_mul_f64_e32 v[167:168], v[146:147], v[6:7]
	v_mul_f64_e32 v[6:7], v[144:145], v[6:7]
	;; [unrolled: 3-line block ×6, first 2 shown]
	v_fma_f64 v[140:141], v[140:141], v[0:1], -v[165:166]
	v_fma_f64 v[142:143], v[142:143], v[0:1], v[2:3]
	v_fma_f64 v[0:1], v[144:145], v[4:5], -v[167:168]
	v_fma_f64 v[2:3], v[146:147], v[4:5], v[6:7]
	;; [unrolled: 2-line block ×6, first 2 shown]
	ds_store_b128 v164, v[140:143]
	ds_store_b128 v164, v[4:7] offset:3696
	ds_store_b128 v164, v[0:3] offset:11088
	;; [unrolled: 1-line block ×5, first 2 shown]
	global_wb scope:SCOPE_SE
	s_wait_dscnt 0x0
	s_barrier_signal -1
	s_barrier_wait -1
	global_inv scope:SCOPE_SE
	ds_load_b128 v[0:3], v164 offset:11088
	ds_load_b128 v[4:7], v164
	ds_load_b128 v[8:11], v164 offset:3696
	ds_load_b128 v[12:15], v164 offset:14784
	;; [unrolled: 1-line block ×4, first 2 shown]
	global_wb scope:SCOPE_SE
	s_wait_dscnt 0x0
	s_barrier_signal -1
	s_barrier_wait -1
	global_inv scope:SCOPE_SE
	v_add_f64_e64 v[144:145], v[4:5], -v[0:1]
	v_add_f64_e64 v[146:147], v[6:7], -v[2:3]
	;; [unrolled: 1-line block ×6, first 2 shown]
	v_fma_f64 v[140:141], v[4:5], 2.0, -v[144:145]
	v_fma_f64 v[142:143], v[6:7], 2.0, -v[146:147]
	;; [unrolled: 1-line block ×6, first 2 shown]
	ds_store_b128 v255, v[140:143]
	ds_store_b128 v255, v[144:147] offset:16
	ds_store_b128 v177, v[152:155]
	ds_store_b128 v177, v[148:151] offset:16
	;; [unrolled: 2-line block ×3, first 2 shown]
	global_wb scope:SCOPE_SE
	s_wait_dscnt 0x0
	s_barrier_signal -1
	s_barrier_wait -1
	global_inv scope:SCOPE_SE
	s_and_saveexec_b32 s1, vcc_lo
	s_cbranch_execz .LBB0_11
; %bb.10:
	ds_load_b128 v[140:143], v164
	ds_load_b128 v[144:147], v164 offset:3168
	ds_load_b128 v[152:155], v164 offset:6336
	;; [unrolled: 1-line block ×6, first 2 shown]
.LBB0_11:
	s_wait_alu 0xfffe
	s_or_b32 exec_lo, exec_lo, s1
	s_wait_dscnt 0x5
	v_mul_f64_e32 v[0:1], v[30:31], v[146:147]
	v_mul_f64_e32 v[2:3], v[30:31], v[144:145]
	s_wait_dscnt 0x4
	v_mul_f64_e32 v[4:5], v[26:27], v[154:155]
	v_mul_f64_e32 v[6:7], v[26:27], v[152:153]
	;; [unrolled: 3-line block ×3, first 2 shown]
	v_mul_f64_e32 v[12:13], v[46:47], v[162:163]
	v_mul_f64_e32 v[14:15], v[46:47], v[160:161]
	;; [unrolled: 1-line block ×6, first 2 shown]
	s_mov_b32 s8, 0x37e14327
	s_mov_b32 s10, 0xb247c609
	;; [unrolled: 1-line block ×6, first 2 shown]
	global_wb scope:SCOPE_SE
	s_barrier_signal -1
	s_barrier_wait -1
	global_inv scope:SCOPE_SE
	v_fma_f64 v[26:27], v[28:29], v[144:145], v[0:1]
	v_fma_f64 v[2:3], v[28:29], v[146:147], -v[2:3]
	v_fma_f64 v[28:29], v[24:25], v[152:153], v[4:5]
	v_fma_f64 v[24:25], v[24:25], v[154:155], -v[6:7]
	;; [unrolled: 2-line block ×6, first 2 shown]
	v_add_f64_e32 v[0:1], v[26:27], v[8:9]
	v_add_f64_e32 v[6:7], v[2:3], v[30:31]
	;; [unrolled: 1-line block ×4, first 2 shown]
	v_add_f64_e64 v[12:13], v[26:27], -v[8:9]
	v_add_f64_e64 v[2:3], v[2:3], -v[30:31]
	v_add_f64_e32 v[26:27], v[16:17], v[20:21]
	v_add_f64_e32 v[30:31], v[18:19], v[22:23]
	v_add_f64_e64 v[16:17], v[20:21], -v[16:17]
	v_add_f64_e64 v[18:19], v[22:23], -v[18:19]
	;; [unrolled: 1-line block ×4, first 2 shown]
	v_add_f64_e32 v[22:23], v[4:5], v[0:1]
	v_add_f64_e32 v[34:35], v[10:11], v[6:7]
	v_add_f64_e64 v[14:15], v[0:1], -v[26:27]
	v_add_f64_e64 v[24:25], v[6:7], -v[30:31]
	v_add_f64_e64 v[28:29], v[12:13], -v[16:17]
	v_add_f64_e64 v[40:41], v[2:3], -v[18:19]
	v_add_f64_e64 v[36:37], v[26:27], -v[4:5]
	v_add_f64_e64 v[38:39], v[30:31], -v[10:11]
	v_add_f64_e32 v[144:145], v[18:19], v[8:9]
	v_add_f64_e64 v[44:45], v[16:17], -v[20:21]
	v_add_f64_e64 v[42:43], v[18:19], -v[8:9]
	v_add_f64_e32 v[22:23], v[26:27], v[22:23]
	v_add_f64_e32 v[46:47], v[30:31], v[34:35]
	v_add_f64_e32 v[30:31], v[16:17], v[20:21]
	s_wait_alu 0xfffe
	v_mul_f64_e32 v[32:33], s[8:9], v[14:15]
	v_mul_f64_e32 v[34:35], s[8:9], v[24:25]
	;; [unrolled: 1-line block ×4, first 2 shown]
	s_mov_b32 s8, 0x36b3c0b5
	s_mov_b32 s10, 0xe976ee23
	;; [unrolled: 1-line block ×4, first 2 shown]
	v_add_f64_e32 v[24:25], v[140:141], v[22:23]
	v_add_f64_e32 v[26:27], v[142:143], v[46:47]
	v_add_f64_e32 v[140:141], v[30:31], v[12:13]
	v_add_f64_e32 v[142:143], v[144:145], v[2:3]
	s_wait_alu 0xfffe
	v_fma_f64 v[16:17], v[36:37], s[8:9], v[32:33]
	v_fma_f64 v[28:29], v[38:39], s[8:9], v[34:35]
	;; [unrolled: 1-line block ×6, first 2 shown]
	s_mov_b32 s12, 0x37c3f68c
	s_mov_b32 s13, 0xbfdc38aa
	s_wait_alu 0xfffe
	s_delay_alu instid0(VALU_DEP_4) | instskip(NEXT) | instid1(VALU_DEP_4)
	v_fma_f64 v[18:19], v[140:141], s[12:13], v[14:15]
	v_fma_f64 v[14:15], v[142:143], s[12:13], v[30:31]
	s_delay_alu instid0(VALU_DEP_4) | instskip(NEXT) | instid1(VALU_DEP_4)
	v_add_f64_e32 v[16:17], v[16:17], v[40:41]
	v_add_f64_e32 v[22:23], v[28:29], v[46:47]
	s_delay_alu instid0(VALU_DEP_2) | instskip(NEXT) | instid1(VALU_DEP_2)
	v_add_f64_e64 v[28:29], v[16:17], -v[14:15]
	v_add_f64_e32 v[30:31], v[18:19], v[22:23]
	s_and_saveexec_b32 s1, vcc_lo
	s_cbranch_execz .LBB0_13
; %bb.12:
	v_add_f64_e64 v[12:13], v[20:21], -v[12:13]
	v_add_f64_e64 v[6:7], v[10:11], -v[6:7]
	;; [unrolled: 1-line block ×4, first 2 shown]
	v_mul_f64_e32 v[4:5], s[8:9], v[38:39]
	v_mul_f64_e32 v[8:9], s[10:11], v[44:45]
	;; [unrolled: 1-line block ×4, first 2 shown]
	s_mov_b32 s9, 0x3febfeb5
	s_mov_b32 s8, 0x429ad128
	;; [unrolled: 1-line block ×4, first 2 shown]
	v_mul_f64_e32 v[36:37], s[12:13], v[140:141]
	v_mul_f64_e32 v[38:39], s[12:13], v[142:143]
	s_wait_alu 0xfffe
	v_fma_f64 v[42:43], v[12:13], s[8:9], -v[138:139]
	v_fma_f64 v[34:35], v[6:7], s[10:11], -v[34:35]
	;; [unrolled: 1-line block ×4, first 2 shown]
	s_mov_b32 s11, 0x3fe77f67
	s_mov_b32 s9, 0xbfebfeb5
	s_wait_alu 0xfffe
	v_fma_f64 v[4:5], v[6:7], s[10:11], -v[4:5]
	v_fma_f64 v[6:7], v[12:13], s[8:9], -v[8:9]
	;; [unrolled: 1-line block ×4, first 2 shown]
	v_add_f64_e32 v[8:9], v[36:37], v[42:43]
	v_add_f64_e32 v[10:11], v[34:35], v[46:47]
	v_add_f64_e32 v[20:21], v[32:33], v[40:41]
	v_add_f64_e32 v[32:33], v[38:39], v[44:45]
	v_add_f64_e32 v[4:5], v[4:5], v[46:47]
	v_add_f64_e32 v[12:13], v[36:37], v[6:7]
	v_add_f64_e32 v[34:35], v[0:1], v[40:41]
	v_add_f64_e32 v[36:37], v[38:39], v[2:3]
	v_add_f64_e64 v[2:3], v[22:23], -v[18:19]
	v_add_f64_e32 v[0:1], v[14:15], v[16:17]
	v_add_f64_e32 v[6:7], v[8:9], v[10:11]
	v_add_f64_e64 v[10:11], v[10:11], -v[8:9]
	v_add_f64_e32 v[8:9], v[32:33], v[20:21]
	v_add_f64_e64 v[14:15], v[4:5], -v[12:13]
	;; [unrolled: 2-line block ×3, first 2 shown]
	s_clause 0x1
	scratch_load_b32 v20, off, off offset:140 th:TH_LOAD_LU
	scratch_load_b32 v21, off, off offset:136 th:TH_LOAD_LU
	v_add_f64_e64 v[16:17], v[34:35], -v[36:37]
	v_add_f64_e32 v[12:13], v[36:37], v[34:35]
	s_wait_loadcnt 0x1
	v_mul_u32_u24_e32 v20, 14, v20
	s_wait_loadcnt 0x0
	s_delay_alu instid0(VALU_DEP_1) | instskip(NEXT) | instid1(VALU_DEP_1)
	v_or_b32_e32 v20, v20, v21
	v_lshlrev_b32_e32 v20, 4, v20
	ds_store_b128 v20, v[24:27]
	ds_store_b128 v20, v[0:3] offset:32
	ds_store_b128 v20, v[8:11] offset:64
	;; [unrolled: 1-line block ×6, first 2 shown]
.LBB0_13:
	s_wait_alu 0xfffe
	s_or_b32 exec_lo, exec_lo, s1
	global_wb scope:SCOPE_SE
	s_wait_dscnt 0x0
	s_barrier_signal -1
	s_barrier_wait -1
	global_inv scope:SCOPE_SE
	ds_load_b128 v[0:3], v164 offset:7392
	ds_load_b128 v[4:7], v164 offset:14784
	;; [unrolled: 1-line block ×4, first 2 shown]
	s_mov_b32 s8, 0xe8584caa
	s_mov_b32 s9, 0xbfebb67a
	;; [unrolled: 1-line block ×3, first 2 shown]
	s_wait_alu 0xfffe
	s_mov_b32 s10, s8
	s_wait_dscnt 0x3
	v_mul_f64_e32 v[16:17], v[58:59], v[2:3]
	s_wait_dscnt 0x2
	v_mul_f64_e32 v[18:19], v[54:55], v[6:7]
	v_mul_f64_e32 v[20:21], v[58:59], v[0:1]
	;; [unrolled: 1-line block ×3, first 2 shown]
	s_wait_dscnt 0x1
	v_mul_f64_e32 v[24:25], v[66:67], v[10:11]
	s_wait_dscnt 0x0
	v_mul_f64_e32 v[26:27], v[62:63], v[14:15]
	v_mul_f64_e32 v[32:33], v[66:67], v[8:9]
	;; [unrolled: 1-line block ×3, first 2 shown]
	v_fma_f64 v[16:17], v[56:57], v[0:1], v[16:17]
	v_fma_f64 v[18:19], v[52:53], v[4:5], v[18:19]
	v_fma_f64 v[20:21], v[56:57], v[2:3], -v[20:21]
	v_fma_f64 v[22:23], v[52:53], v[6:7], -v[22:23]
	v_fma_f64 v[8:9], v[64:65], v[8:9], v[24:25]
	v_fma_f64 v[12:13], v[60:61], v[12:13], v[26:27]
	ds_load_b128 v[0:3], v164
	ds_load_b128 v[4:7], v164 offset:3696
	v_fma_f64 v[10:11], v[64:65], v[10:11], -v[32:33]
	global_wb scope:SCOPE_SE
	s_wait_dscnt 0x0
	s_barrier_signal -1
	s_barrier_wait -1
	global_inv scope:SCOPE_SE
	v_fma_f64 v[14:15], v[60:61], v[14:15], -v[34:35]
	v_add_f64_e32 v[36:37], v[0:1], v[16:17]
	v_add_f64_e32 v[24:25], v[16:17], v[18:19]
	v_add_f64_e64 v[16:17], v[16:17], -v[18:19]
	v_add_f64_e64 v[38:39], v[20:21], -v[22:23]
	v_add_f64_e32 v[40:41], v[4:5], v[8:9]
	v_add_f64_e32 v[32:33], v[8:9], v[12:13]
	;; [unrolled: 1-line block ×5, first 2 shown]
	v_add_f64_e64 v[8:9], v[8:9], -v[12:13]
	v_add_f64_e32 v[34:35], v[10:11], v[14:15]
	v_add_f64_e64 v[10:11], v[10:11], -v[14:15]
	v_fma_f64 v[0:1], v[24:25], -0.5, v[0:1]
	v_add_f64_e32 v[24:25], v[36:37], v[18:19]
	v_add_f64_e32 v[40:41], v[40:41], v[12:13]
	v_fma_f64 v[4:5], v[32:33], -0.5, v[4:5]
	v_fma_f64 v[2:3], v[26:27], -0.5, v[2:3]
	v_add_f64_e32 v[26:27], v[20:21], v[22:23]
	v_add_f64_e32 v[42:43], v[42:43], v[14:15]
	v_fma_f64 v[6:7], v[34:35], -0.5, v[6:7]
	v_fma_f64 v[36:37], v[38:39], s[8:9], v[0:1]
	s_wait_alu 0xfffe
	v_fma_f64 v[32:33], v[38:39], s[10:11], v[0:1]
	scratch_load_b32 v0, off, off offset:128 th:TH_LOAD_LU ; 4-byte Folded Reload
	v_fma_f64 v[44:45], v[10:11], s[8:9], v[4:5]
	v_fma_f64 v[38:39], v[16:17], s[10:11], v[2:3]
	;; [unrolled: 1-line block ×4, first 2 shown]
	s_wait_loadcnt 0x0
	ds_store_b128 v0, v[24:27]
	ds_store_b128 v0, v[36:39] offset:224
	ds_store_b128 v0, v[32:35] offset:448
	scratch_load_b32 v0, off, off offset:124 th:TH_LOAD_LU ; 4-byte Folded Reload
	v_fma_f64 v[46:47], v[8:9], s[10:11], v[6:7]
	v_fma_f64 v[54:55], v[8:9], s[8:9], v[6:7]
	s_wait_loadcnt 0x0
	ds_store_b128 v0, v[40:43]
	ds_store_b128 v0, v[44:47] offset:224
	ds_store_b128 v0, v[52:55] offset:448
	global_wb scope:SCOPE_SE
	s_wait_dscnt 0x0
	s_barrier_signal -1
	s_barrier_wait -1
	global_inv scope:SCOPE_SE
	s_and_saveexec_b32 s1, s0
	s_cbranch_execz .LBB0_15
; %bb.14:
	ds_load_b128 v[24:27], v164
	ds_load_b128 v[36:39], v164 offset:2016
	ds_load_b128 v[32:35], v164 offset:4032
	;; [unrolled: 1-line block ×10, first 2 shown]
.LBB0_15:
	s_wait_alu 0xfffe
	s_or_b32 exec_lo, exec_lo, s1
	global_wb scope:SCOPE_SE
	s_wait_dscnt 0x0
	s_barrier_signal -1
	s_barrier_wait -1
	global_inv scope:SCOPE_SE
	s_and_saveexec_b32 s16, s0
	s_cbranch_execz .LBB0_17
; %bb.16:
	v_mul_f64_e32 v[2:3], v[50:51], v[38:39]
	v_mul_f64_e32 v[0:1], v[50:51], v[36:37]
	;; [unrolled: 1-line block ×20, first 2 shown]
	s_mov_b32 s18, 0x43842ef
	s_mov_b32 s22, 0xbb3a28a1
	;; [unrolled: 1-line block ×18, first 2 shown]
	v_fma_f64 v[2:3], v[48:49], v[36:37], v[2:3]
	v_fma_f64 v[0:1], v[48:49], v[38:39], -v[0:1]
	v_fma_f64 v[12:13], v[88:89], v[44:45], v[12:13]
	v_fma_f64 v[44:45], v[92:93], v[132:133], v[14:15]
	v_fma_f64 v[14:15], v[88:89], v[46:47], -v[16:17]
	v_fma_f64 v[46:47], v[92:93], v[134:135], -v[18:19]
	v_fma_f64 v[16:17], v[80:81], v[40:41], v[20:21]
	v_fma_f64 v[18:19], v[68:69], v[32:33], v[50:51]
	v_fma_f64 v[20:21], v[80:81], v[42:43], -v[60:61]
	v_fma_f64 v[6:7], v[100:101], v[28:29], v[6:7]
	v_fma_f64 v[10:11], v[100:101], v[30:31], -v[10:11]
	v_fma_f64 v[36:37], v[84:85], v[128:129], v[22:23]
	v_fma_f64 v[28:29], v[72:73], v[120:121], v[58:59]
	v_fma_f64 v[22:23], v[68:69], v[34:35], -v[64:65]
	v_fma_f64 v[30:31], v[72:73], v[122:123], -v[70:71]
	v_fma_f64 v[4:5], v[96:97], v[52:53], v[4:5]
	v_fma_f64 v[8:9], v[96:97], v[54:55], -v[8:9]
	v_fma_f64 v[38:39], v[84:85], v[130:131], -v[62:63]
	v_fma_f64 v[32:33], v[76:77], v[124:125], v[56:57]
	v_fma_f64 v[34:35], v[76:77], v[126:127], -v[66:67]
	s_wait_alu 0xfffe
	s_mov_b32 s28, s24
	s_mov_b32 s30, s18
	;; [unrolled: 1-line block ×7, first 2 shown]
	v_add_f64_e32 v[42:43], v[24:25], v[2:3]
	v_add_f64_e32 v[40:41], v[26:27], v[0:1]
	v_add_f64_e64 v[50:51], v[12:13], -v[44:45]
	v_add_f64_e32 v[76:77], v[12:13], v[44:45]
	v_add_f64_e64 v[60:61], v[14:15], -v[46:47]
	;; [unrolled: 2-line block ×3, first 2 shown]
	v_add_f64_e64 v[56:57], v[2:3], -v[28:29]
	v_add_f64_e32 v[78:79], v[16:17], v[36:37]
	v_add_f64_e64 v[66:67], v[0:1], -v[30:31]
	v_add_f64_e64 v[48:49], v[4:5], -v[6:7]
	;; [unrolled: 1-line block ×6, first 2 shown]
	v_add_f64_e32 v[72:73], v[20:21], v[38:39]
	v_add_f64_e32 v[0:1], v[0:1], v[30:31]
	;; [unrolled: 1-line block ×8, first 2 shown]
	v_mul_f64_e32 v[82:83], s[20:21], v[50:51]
	v_add_f64_e32 v[18:19], v[18:19], v[32:33]
	v_mul_f64_e32 v[92:93], s[20:21], v[60:61]
	v_mul_f64_e32 v[102:103], s[26:27], v[50:51]
	;; [unrolled: 1-line block ×3, first 2 shown]
	s_wait_alu 0xfffe
	v_mul_f64_e32 v[134:135], s[28:29], v[50:51]
	v_mul_f64_e32 v[144:145], s[28:29], v[60:61]
	;; [unrolled: 1-line block ×12, first 2 shown]
	s_mov_b32 s21, 0xbfed1bb4
	v_mul_f64_e32 v[86:87], s[24:25], v[54:55]
	v_mul_f64_e32 v[96:97], s[24:25], v[64:65]
	;; [unrolled: 1-line block ×8, first 2 shown]
	s_wait_alu 0xfffe
	v_mul_f64_e32 v[171:172], s[20:21], v[66:67]
	v_mul_f64_e32 v[66:67], s[28:29], v[66:67]
	;; [unrolled: 1-line block ×9, first 2 shown]
	v_add_f64_e32 v[16:17], v[42:43], v[16:17]
	v_add_f64_e32 v[20:21], v[40:41], v[20:21]
	v_mul_f64_e32 v[42:43], s[22:23], v[56:57]
	v_mul_f64_e32 v[40:41], s[30:31], v[54:55]
	;; [unrolled: 1-line block ×10, first 2 shown]
	v_fma_f64 v[177:178], v[0:1], s[8:9], v[88:89]
	v_fma_f64 v[88:89], v[0:1], s[8:9], -v[88:89]
	v_fma_f64 v[187:188], v[2:3], s[8:9], -v[98:99]
	v_fma_f64 v[98:99], v[2:3], s[8:9], v[98:99]
	v_fma_f64 v[191:192], v[2:3], s[10:11], -v[130:131]
	v_fma_f64 v[130:131], v[2:3], s[10:11], v[130:131]
	v_fma_f64 v[193:194], v[0:1], s[14:15], v[140:141]
	v_fma_f64 v[195:196], v[2:3], s[14:15], -v[150:151]
	v_fma_f64 v[140:141], v[0:1], s[14:15], -v[140:141]
	v_fma_f64 v[175:176], v[22:23], s[12:13], v[86:87]
	v_fma_f64 v[185:186], v[18:19], s[12:13], -v[96:97]
	v_fma_f64 v[86:87], v[22:23], s[12:13], -v[86:87]
	v_fma_f64 v[96:97], v[18:19], s[12:13], v[96:97]
	v_fma_f64 v[150:151], v[2:3], s[14:15], v[150:151]
	v_fma_f64 v[203:204], v[18:19], s[8:9], -v[148:149]
	v_fma_f64 v[148:149], v[18:19], s[8:9], v[148:149]
	v_fma_f64 v[197:198], v[0:1], s[12:13], v[169:170]
	;; [unrolled: 3-line block ×3, first 2 shown]
	v_fma_f64 v[207:208], v[18:19], s[10:11], -v[167:168]
	v_fma_f64 v[158:159], v[22:23], s[10:11], -v[158:159]
	v_fma_f64 v[167:168], v[18:19], s[10:11], v[167:168]
	v_fma_f64 v[173:174], v[72:73], s[10:11], v[84:85]
	v_fma_f64 v[183:184], v[78:79], s[10:11], -v[94:95]
	v_fma_f64 v[84:85], v[72:73], s[10:11], -v[84:85]
	v_add_f64_e32 v[12:13], v[16:17], v[12:13]
	v_add_f64_e32 v[14:15], v[20:21], v[14:15]
	v_mul_f64_e32 v[16:17], s[20:21], v[54:55]
	v_mul_f64_e32 v[20:21], s[20:21], v[64:65]
	v_fma_f64 v[189:190], v[0:1], s[10:11], v[42:43]
	v_fma_f64 v[42:43], v[0:1], s[10:11], -v[42:43]
	v_fma_f64 v[199:200], v[0:1], s[0:1], -v[56:57]
	v_fma_f64 v[0:1], v[0:1], s[0:1], v[56:57]
	v_fma_f64 v[56:57], v[2:3], s[0:1], -v[171:172]
	v_fma_f64 v[171:172], v[22:23], s[8:9], v[138:139]
	;; [unrolled: 2-line block ×3, first 2 shown]
	v_fma_f64 v[213:214], v[72:73], s[14:15], v[52:53]
	v_add_f64_e32 v[88:89], v[26:27], v[88:89]
	v_fma_f64 v[215:216], v[78:79], s[14:15], -v[62:63]
	v_add_f64_e32 v[98:99], v[24:25], v[98:99]
	v_fma_f64 v[52:53], v[72:73], s[14:15], -v[52:53]
	v_add_f64_e32 v[130:131], v[24:25], v[130:131]
	v_fma_f64 v[62:63], v[78:79], s[14:15], v[62:63]
	v_mul_f64_e32 v[58:59], s[26:27], v[58:59]
	v_add_f64_e32 v[140:141], v[26:27], v[140:141]
	v_mul_f64_e32 v[60:61], s[22:23], v[60:61]
	v_fma_f64 v[181:182], v[76:77], s[0:1], -v[92:93]
	v_fma_f64 v[64:65], v[70:71], s[0:1], v[82:83]
	v_fma_f64 v[179:180], v[74:75], s[14:15], -v[90:91]
	v_add_f64_e32 v[150:151], v[24:25], v[150:151]
	v_fma_f64 v[82:83], v[70:71], s[0:1], -v[82:83]
	v_fma_f64 v[90:91], v[74:75], s[14:15], v[90:91]
	v_fma_f64 v[92:93], v[76:77], s[0:1], v[92:93]
	v_add_f64_e32 v[169:170], v[26:27], v[169:170]
	v_mul_f64_e32 v[80:81], s[18:19], v[48:49]
	v_mul_f64_e32 v[152:153], s[24:25], v[48:49]
	;; [unrolled: 1-line block ×3, first 2 shown]
	v_add_f64_e32 v[4:5], v[12:13], v[4:5]
	v_add_f64_e32 v[8:9], v[14:15], v[8:9]
	v_fma_f64 v[12:13], v[2:3], s[12:13], v[66:67]
	v_fma_f64 v[2:3], v[2:3], s[12:13], -v[66:67]
	v_fma_f64 v[14:15], v[22:23], s[14:15], v[40:41]
	v_fma_f64 v[66:67], v[18:19], s[14:15], -v[128:129]
	v_fma_f64 v[40:41], v[22:23], s[14:15], -v[40:41]
	v_fma_f64 v[128:129], v[18:19], s[14:15], v[128:129]
	v_fma_f64 v[209:210], v[22:23], s[0:1], v[16:17]
	v_fma_f64 v[211:212], v[18:19], s[0:1], -v[20:21]
	v_fma_f64 v[16:17], v[22:23], s[0:1], -v[16:17]
	v_fma_f64 v[18:19], v[18:19], s[0:1], v[20:21]
	v_add_f64_e32 v[20:21], v[26:27], v[177:178]
	v_add_f64_e32 v[22:23], v[24:25], v[187:188]
	;; [unrolled: 1-line block ×12, first 2 shown]
	v_fma_f64 v[56:57], v[78:79], s[12:13], v[126:127]
	v_fma_f64 v[199:200], v[72:73], s[8:9], v[156:157]
	v_fma_f64 v[201:202], v[78:79], s[8:9], -v[165:166]
	v_fma_f64 v[156:157], v[72:73], s[8:9], -v[156:157]
	v_fma_f64 v[165:166], v[78:79], s[8:9], v[165:166]
	v_fma_f64 v[54:55], v[68:69], s[14:15], v[80:81]
	v_fma_f64 v[80:81], v[68:69], s[14:15], -v[80:81]
	v_add_f64_e32 v[4:5], v[4:5], v[6:7]
	v_add_f64_e32 v[8:9], v[8:9], v[10:11]
	v_add_f64_e32 v[6:7], v[24:25], v[12:13]
	v_add_f64_e32 v[2:3], v[24:25], v[2:3]
	v_fma_f64 v[10:11], v[72:73], s[12:13], v[120:121]
	v_fma_f64 v[12:13], v[78:79], s[12:13], -v[126:127]
	v_fma_f64 v[24:25], v[72:73], s[12:13], -v[120:121]
	v_fma_f64 v[120:121], v[72:73], s[0:1], v[136:137]
	v_fma_f64 v[126:127], v[78:79], s[0:1], -v[146:147]
	v_fma_f64 v[136:137], v[72:73], s[0:1], -v[136:137]
	v_fma_f64 v[146:147], v[78:79], s[0:1], v[146:147]
	v_add_f64_e32 v[72:73], v[86:87], v[88:89]
	v_add_f64_e32 v[78:79], v[96:97], v[98:99]
	;; [unrolled: 1-line block ×13, first 2 shown]
	v_fma_f64 v[140:141], v[76:77], s[12:13], -v[144:145]
	v_add_f64_e32 v[130:131], v[158:159], v[195:196]
	v_add_f64_e32 v[138:139], v[167:168], v[197:198]
	v_fma_f64 v[144:145], v[76:77], s[12:13], v[144:145]
	v_fma_f64 v[148:149], v[70:71], s[14:15], v[154:155]
	v_fma_f64 v[150:151], v[76:77], s[14:15], -v[162:163]
	v_fma_f64 v[154:155], v[70:71], s[14:15], -v[154:155]
	v_fma_f64 v[158:159], v[76:77], s[14:15], v[162:163]
	v_fma_f64 v[162:163], v[70:71], s[10:11], v[50:51]
	v_fma_f64 v[167:168], v[76:77], s[10:11], -v[60:61]
	v_fma_f64 v[50:51], v[70:71], s[10:11], -v[50:51]
	v_fma_f64 v[60:61], v[76:77], s[10:11], v[60:61]
	v_add_f64_e32 v[20:21], v[175:176], v[20:21]
	v_add_f64_e32 v[16:17], v[16:17], v[169:170]
	;; [unrolled: 1-line block ×5, first 2 shown]
	v_fma_f64 v[18:19], v[70:71], s[8:9], v[102:103]
	v_fma_f64 v[44:45], v[76:77], s[8:9], -v[124:125]
	v_fma_f64 v[46:47], v[70:71], s[8:9], -v[102:103]
	v_fma_f64 v[102:103], v[76:77], s[8:9], v[124:125]
	v_fma_f64 v[124:125], v[70:71], s[12:13], v[134:135]
	v_fma_f64 v[134:135], v[70:71], s[12:13], -v[134:135]
	v_add_f64_e32 v[26:27], v[207:208], v[26:27]
	v_add_f64_e32 v[2:3], v[211:212], v[2:3]
	;; [unrolled: 1-line block ×6, first 2 shown]
	v_fma_f64 v[84:85], v[74:75], s[0:1], v[122:123]
	v_add_f64_e32 v[14:15], v[24:25], v[40:41]
	v_add_f64_e32 v[24:25], v[56:57], v[42:43]
	;; [unrolled: 1-line block ×9, first 2 shown]
	v_fma_f64 v[88:89], v[74:75], s[10:11], -v[142:143]
	v_fma_f64 v[94:95], v[68:69], s[10:11], -v[132:133]
	v_fma_f64 v[96:97], v[74:75], s[10:11], v[142:143]
	v_fma_f64 v[128:129], v[74:75], s[8:9], -v[58:59]
	v_fma_f64 v[58:59], v[74:75], s[8:9], v[58:59]
	v_add_f64_e32 v[78:79], v[165:166], v[138:139]
	v_fma_f64 v[86:87], v[68:69], s[10:11], v[132:133]
	v_fma_f64 v[98:99], v[68:69], s[12:13], v[152:153]
	v_fma_f64 v[120:121], v[68:69], s[12:13], -v[152:153]
	v_fma_f64 v[126:127], v[68:69], s[8:9], v[48:49]
	v_fma_f64 v[48:49], v[68:69], s[8:9], -v[48:49]
	v_add_f64_e32 v[20:21], v[173:174], v[20:21]
	v_add_f64_e32 v[16:17], v[52:53], v[16:17]
	v_add_f64_e32 v[4:5], v[4:5], v[36:37]
	v_add_f64_e32 v[8:9], v[8:9], v[38:39]
	v_add_f64_e32 v[6:7], v[62:63], v[6:7]
	v_fma_f64 v[36:37], v[68:69], s[0:1], v[100:101]
	v_fma_f64 v[38:39], v[74:75], s[0:1], -v[122:123]
	v_fma_f64 v[62:63], v[68:69], s[0:1], -v[100:101]
	;; [unrolled: 1-line block ×3, first 2 shown]
	v_fma_f64 v[122:123], v[74:75], s[12:13], v[160:161]
	v_add_f64_e32 v[52:53], v[156:157], v[130:131]
	v_add_f64_e32 v[26:27], v[201:202], v[26:27]
	;; [unrolled: 1-line block ×40, first 2 shown]
	s_clause 0x1
	scratch_load_b32 v28, off, off offset:120 th:TH_LOAD_LU
	scratch_load_b32 v29, off, off offset:108 th:TH_LOAD_LU
	v_add_f64_e32 v[20:21], v[96:97], v[44:45]
	v_add_f64_e32 v[44:45], v[72:73], v[30:31]
	;; [unrolled: 1-line block ×7, first 2 shown]
	s_wait_loadcnt 0x1
	v_mul_u32_u24_e32 v28, 0x1ce, v28
	s_wait_loadcnt 0x0
	s_delay_alu instid0(VALU_DEP_1)
	v_add_lshl_u32 v28, v28, v29, 4
	ds_store_b128 v28, v[12:15] offset:2688
	ds_store_b128 v28, v[4:7] offset:3360
	ds_store_b128 v28, v[0:3] offset:4032
	ds_store_b128 v28, v[8:11] offset:4704
	ds_store_b128 v28, v[34:37] offset:1344
	ds_store_b128 v28, v[20:23] offset:2016
	ds_store_b128 v28, v[16:19] offset:5376
	ds_store_b128 v28, v[38:41] offset:6048
	ds_store_b128 v28, v[42:45]
	ds_store_b128 v28, v[30:33] offset:672
	ds_store_b128 v28, v[24:27] offset:6720
.LBB0_17:
	s_wait_alu 0xfffe
	s_or_b32 exec_lo, exec_lo, s16
	global_wb scope:SCOPE_SE
	s_wait_dscnt 0x0
	s_barrier_signal -1
	s_barrier_wait -1
	global_inv scope:SCOPE_SE
	ds_load_b128 v[0:3], v164 offset:7392
	ds_load_b128 v[4:7], v164 offset:14784
	;; [unrolled: 1-line block ×4, first 2 shown]
	s_mov_b32 s0, 0xe8584caa
	s_mov_b32 s1, 0xbfebb67a
	;; [unrolled: 1-line block ×3, first 2 shown]
	s_wait_alu 0xfffe
	s_mov_b32 s8, s0
	v_mad_co_u64_u32 v[50:51], null, s4, v217, 0
	s_wait_dscnt 0x3
	v_mul_f64_e32 v[16:17], v[118:119], v[2:3]
	v_mul_f64_e32 v[18:19], v[118:119], v[0:1]
	s_wait_dscnt 0x2
	v_mul_f64_e32 v[20:21], v[114:115], v[6:7]
	v_mul_f64_e32 v[22:23], v[114:115], v[4:5]
	;; [unrolled: 3-line block ×4, first 2 shown]
	v_fma_f64 v[16:17], v[116:117], v[0:1], v[16:17]
	v_fma_f64 v[18:19], v[116:117], v[2:3], -v[18:19]
	v_fma_f64 v[20:21], v[112:113], v[4:5], v[20:21]
	v_fma_f64 v[22:23], v[112:113], v[6:7], -v[22:23]
	;; [unrolled: 2-line block ×4, first 2 shown]
	ds_load_b128 v[0:3], v164
	ds_load_b128 v[4:7], v164 offset:3696
	s_wait_dscnt 0x1
	v_add_f64_e32 v[32:33], v[0:1], v[16:17]
	v_add_f64_e32 v[24:25], v[16:17], v[20:21]
	;; [unrolled: 1-line block ×3, first 2 shown]
	v_add_f64_e64 v[34:35], v[18:19], -v[22:23]
	v_add_f64_e32 v[18:19], v[2:3], v[18:19]
	v_add_f64_e32 v[28:29], v[8:9], v[12:13]
	;; [unrolled: 1-line block ×3, first 2 shown]
	s_wait_dscnt 0x0
	v_add_f64_e32 v[36:37], v[4:5], v[8:9]
	v_add_f64_e32 v[38:39], v[6:7], v[10:11]
	v_add_f64_e64 v[16:17], v[16:17], -v[20:21]
	v_add_f64_e64 v[40:41], v[10:11], -v[14:15]
	;; [unrolled: 1-line block ×3, first 2 shown]
	v_fma_f64 v[24:25], v[24:25], -0.5, v[0:1]
	v_fma_f64 v[26:27], v[26:27], -0.5, v[2:3]
	v_add_f64_e32 v[0:1], v[32:33], v[20:21]
	v_add_f64_e32 v[2:3], v[18:19], v[22:23]
	v_fma_f64 v[28:29], v[28:29], -0.5, v[4:5]
	v_fma_f64 v[30:31], v[30:31], -0.5, v[6:7]
	v_add_f64_e32 v[4:5], v[36:37], v[12:13]
	v_add_f64_e32 v[6:7], v[38:39], v[14:15]
	v_fma_f64 v[8:9], v[34:35], s[0:1], v[24:25]
	s_wait_alu 0xfffe
	v_fma_f64 v[10:11], v[16:17], s[8:9], v[26:27]
	v_fma_f64 v[14:15], v[16:17], s[0:1], v[26:27]
	;; [unrolled: 1-line block ×7, first 2 shown]
	s_mov_b32 s0, 0x5e918c
	s_mov_b32 s1, 0x3f47a463
	ds_store_b128 v164, v[0:3]
	ds_store_b128 v164, v[4:7] offset:3696
	ds_store_b128 v164, v[8:11] offset:7392
	ds_store_b128 v164, v[16:19] offset:11088
	ds_store_b128 v164, v[12:15] offset:14784
	ds_store_b128 v164, v[20:23] offset:18480
	global_wb scope:SCOPE_SE
	s_wait_dscnt 0x0
	s_barrier_signal -1
	s_barrier_wait -1
	global_inv scope:SCOPE_SE
	ds_load_b128 v[0:3], v164
	ds_load_b128 v[4:7], v164 offset:11088
	ds_load_b128 v[8:11], v164 offset:3696
	;; [unrolled: 1-line block ×5, first 2 shown]
	s_clause 0x3
	scratch_load_b128 v[65:68], off, off offset:60 th:TH_LOAD_LU
	scratch_load_b128 v[59:62], off, off offset:28 th:TH_LOAD_LU
	;; [unrolled: 1-line block ×3, first 2 shown]
	scratch_load_b64 v[48:49], off, off th:TH_LOAD_LU
	s_wait_loadcnt_dscnt 0x305
	v_mul_f64_e32 v[24:25], v[67:68], v[2:3]
	v_mul_f64_e32 v[26:27], v[67:68], v[0:1]
	s_wait_loadcnt_dscnt 0x204
	v_mul_f64_e32 v[28:29], v[61:62], v[6:7]
	v_mul_f64_e32 v[30:31], v[61:62], v[4:5]
	s_clause 0x1
	scratch_load_b128 v[61:64], off, off offset:44 th:TH_LOAD_LU
	scratch_load_b128 v[67:70], off, off offset:76 th:TH_LOAD_LU
	s_wait_loadcnt_dscnt 0x302
	v_mul_f64_e32 v[36:37], v[57:58], v[14:15]
	v_mul_f64_e32 v[38:39], v[57:58], v[12:13]
	s_wait_loadcnt 0x2
	v_mov_b32_e32 v52, v48
	s_delay_alu instid0(VALU_DEP_1) | instskip(NEXT) | instid1(VALU_DEP_1)
	v_mad_co_u64_u32 v[48:49], null, s6, v52, 0
	v_mad_co_u64_u32 v[52:53], null, s7, v52, v[49:50]
	s_delay_alu instid0(VALU_DEP_1) | instskip(SKIP_1) | instid1(VALU_DEP_2)
	v_mad_co_u64_u32 v[53:54], null, s5, v217, v[51:52]
	v_mov_b32_e32 v49, v52
	v_mov_b32_e32 v51, v53
	v_fma_f64 v[0:1], v[65:66], v[0:1], v[24:25]
	v_fma_f64 v[2:3], v[65:66], v[2:3], -v[26:27]
	v_fma_f64 v[4:5], v[59:60], v[4:5], v[28:29]
	v_fma_f64 v[6:7], v[59:60], v[6:7], -v[30:31]
	v_lshlrev_b64_e32 v[24:25], 4, v[48:49]
	v_lshlrev_b64_e32 v[26:27], 4, v[50:51]
	v_fma_f64 v[12:13], v[55:56], v[12:13], v[36:37]
	v_fma_f64 v[14:15], v[55:56], v[14:15], -v[38:39]
	s_delay_alu instid0(VALU_DEP_4) | instskip(SKIP_3) | instid1(VALU_DEP_2)
	v_add_co_u32 v24, vcc_lo, s2, v24
	s_wait_alu 0xfffd
	v_add_co_ci_u32_e32 v25, vcc_lo, s3, v25, vcc_lo
	s_mul_u64 s[2:3], s[4:5], 0x2b50
	v_add_co_u32 v24, vcc_lo, v24, v26
	s_wait_alu 0xfffd
	s_delay_alu instid0(VALU_DEP_2) | instskip(SKIP_1) | instid1(VALU_DEP_2)
	v_add_co_ci_u32_e32 v25, vcc_lo, v25, v27, vcc_lo
	s_wait_alu 0xfffe
	v_add_co_u32 v26, vcc_lo, v24, s2
	s_wait_alu 0xfffd
	s_delay_alu instid0(VALU_DEP_2) | instskip(NEXT) | instid1(VALU_DEP_1)
	v_add_co_ci_u32_e32 v27, vcc_lo, s3, v25, vcc_lo
	v_mad_co_u64_u32 v[28:29], null, 0xffffe320, s4, v[26:27]
	s_delay_alu instid0(VALU_DEP_1)
	v_add_co_u32 v30, vcc_lo, v28, s2
	v_mul_f64_e32 v[0:1], s[0:1], v[0:1]
	v_mul_f64_e32 v[2:3], s[0:1], v[2:3]
	;; [unrolled: 1-line block ×6, first 2 shown]
	s_wait_loadcnt 0x1
	v_mul_f64_e32 v[32:33], v[63:64], v[10:11]
	s_wait_loadcnt_dscnt 0x1
	v_mul_f64_e32 v[40:41], v[69:70], v[18:19]
	v_mul_f64_e32 v[42:43], v[69:70], v[16:17]
	scratch_load_b128 v[69:72], off, off offset:92 th:TH_LOAD_LU ; 16-byte Folded Reload
	v_mul_f64_e32 v[34:35], v[63:64], v[8:9]
	v_fma_f64 v[8:9], v[61:62], v[8:9], v[32:33]
	v_fma_f64 v[16:17], v[67:68], v[16:17], v[40:41]
	v_fma_f64 v[18:19], v[67:68], v[18:19], -v[42:43]
	s_delay_alu instid0(VALU_DEP_4) | instskip(NEXT) | instid1(VALU_DEP_4)
	v_fma_f64 v[10:11], v[61:62], v[10:11], -v[34:35]
	v_mul_f64_e32 v[8:9], s[0:1], v[8:9]
	s_delay_alu instid0(VALU_DEP_4) | instskip(NEXT) | instid1(VALU_DEP_4)
	v_mul_f64_e32 v[16:17], s[0:1], v[16:17]
	v_mul_f64_e32 v[18:19], s[0:1], v[18:19]
	s_delay_alu instid0(VALU_DEP_4) | instskip(SKIP_3) | instid1(VALU_DEP_2)
	v_mul_f64_e32 v[10:11], s[0:1], v[10:11]
	s_wait_loadcnt_dscnt 0x0
	v_mul_f64_e32 v[44:45], v[71:72], v[22:23]
	v_mul_f64_e32 v[46:47], v[71:72], v[20:21]
	v_fma_f64 v[20:21], v[69:70], v[20:21], v[44:45]
	s_delay_alu instid0(VALU_DEP_2) | instskip(NEXT) | instid1(VALU_DEP_2)
	v_fma_f64 v[22:23], v[69:70], v[22:23], -v[46:47]
	v_mul_f64_e32 v[20:21], s[0:1], v[20:21]
	s_delay_alu instid0(VALU_DEP_2)
	v_mul_f64_e32 v[22:23], s[0:1], v[22:23]
	s_mul_i32 s0, s5, 0xffffe320
	s_wait_alu 0xfffe
	s_sub_co_i32 s0, s0, s4
	s_wait_alu 0xfffe
	v_add_nc_u32_e32 v29, s0, v29
	s_wait_alu 0xfffd
	s_delay_alu instid0(VALU_DEP_1) | instskip(NEXT) | instid1(VALU_DEP_1)
	v_add_co_ci_u32_e32 v31, vcc_lo, s3, v29, vcc_lo
	v_mad_co_u64_u32 v[32:33], null, 0xffffe320, s4, v[30:31]
	s_delay_alu instid0(VALU_DEP_1) | instskip(NEXT) | instid1(VALU_DEP_2)
	v_add_nc_u32_e32 v33, s0, v33
	v_add_co_u32 v34, vcc_lo, v32, s2
	s_wait_alu 0xfffd
	s_delay_alu instid0(VALU_DEP_2)
	v_add_co_ci_u32_e32 v35, vcc_lo, s3, v33, vcc_lo
	s_clause 0x4
	global_store_b128 v[24:25], v[0:3], off
	global_store_b128 v[26:27], v[4:7], off
	;; [unrolled: 1-line block ×6, first 2 shown]
.LBB0_18:
	s_nop 0
	s_sendmsg sendmsg(MSG_DEALLOC_VGPRS)
	s_endpgm
	.section	.rodata,"a",@progbits
	.p2align	6, 0x0
	.amdhsa_kernel bluestein_single_fwd_len1386_dim1_dp_op_CI_CI
		.amdhsa_group_segment_fixed_size 22176
		.amdhsa_private_segment_fixed_size 220
		.amdhsa_kernarg_size 104
		.amdhsa_user_sgpr_count 2
		.amdhsa_user_sgpr_dispatch_ptr 0
		.amdhsa_user_sgpr_queue_ptr 0
		.amdhsa_user_sgpr_kernarg_segment_ptr 1
		.amdhsa_user_sgpr_dispatch_id 0
		.amdhsa_user_sgpr_private_segment_size 0
		.amdhsa_wavefront_size32 1
		.amdhsa_uses_dynamic_stack 0
		.amdhsa_enable_private_segment 1
		.amdhsa_system_sgpr_workgroup_id_x 1
		.amdhsa_system_sgpr_workgroup_id_y 0
		.amdhsa_system_sgpr_workgroup_id_z 0
		.amdhsa_system_sgpr_workgroup_info 0
		.amdhsa_system_vgpr_workitem_id 0
		.amdhsa_next_free_vgpr 256
		.amdhsa_next_free_sgpr 40
		.amdhsa_reserve_vcc 1
		.amdhsa_float_round_mode_32 0
		.amdhsa_float_round_mode_16_64 0
		.amdhsa_float_denorm_mode_32 3
		.amdhsa_float_denorm_mode_16_64 3
		.amdhsa_fp16_overflow 0
		.amdhsa_workgroup_processor_mode 1
		.amdhsa_memory_ordered 1
		.amdhsa_forward_progress 0
		.amdhsa_round_robin_scheduling 0
		.amdhsa_exception_fp_ieee_invalid_op 0
		.amdhsa_exception_fp_denorm_src 0
		.amdhsa_exception_fp_ieee_div_zero 0
		.amdhsa_exception_fp_ieee_overflow 0
		.amdhsa_exception_fp_ieee_underflow 0
		.amdhsa_exception_fp_ieee_inexact 0
		.amdhsa_exception_int_div_zero 0
	.end_amdhsa_kernel
	.text
.Lfunc_end0:
	.size	bluestein_single_fwd_len1386_dim1_dp_op_CI_CI, .Lfunc_end0-bluestein_single_fwd_len1386_dim1_dp_op_CI_CI
                                        ; -- End function
	.section	.AMDGPU.csdata,"",@progbits
; Kernel info:
; codeLenInByte = 13004
; NumSgprs: 42
; NumVgprs: 256
; ScratchSize: 220
; MemoryBound: 0
; FloatMode: 240
; IeeeMode: 1
; LDSByteSize: 22176 bytes/workgroup (compile time only)
; SGPRBlocks: 5
; VGPRBlocks: 31
; NumSGPRsForWavesPerEU: 42
; NumVGPRsForWavesPerEU: 256
; Occupancy: 5
; WaveLimiterHint : 1
; COMPUTE_PGM_RSRC2:SCRATCH_EN: 1
; COMPUTE_PGM_RSRC2:USER_SGPR: 2
; COMPUTE_PGM_RSRC2:TRAP_HANDLER: 0
; COMPUTE_PGM_RSRC2:TGID_X_EN: 1
; COMPUTE_PGM_RSRC2:TGID_Y_EN: 0
; COMPUTE_PGM_RSRC2:TGID_Z_EN: 0
; COMPUTE_PGM_RSRC2:TIDIG_COMP_CNT: 0
	.text
	.p2alignl 7, 3214868480
	.fill 96, 4, 3214868480
	.type	__hip_cuid_f89316d460c89cc7,@object ; @__hip_cuid_f89316d460c89cc7
	.section	.bss,"aw",@nobits
	.globl	__hip_cuid_f89316d460c89cc7
__hip_cuid_f89316d460c89cc7:
	.byte	0                               ; 0x0
	.size	__hip_cuid_f89316d460c89cc7, 1

	.ident	"AMD clang version 19.0.0git (https://github.com/RadeonOpenCompute/llvm-project roc-6.4.0 25133 c7fe45cf4b819c5991fe208aaa96edf142730f1d)"
	.section	".note.GNU-stack","",@progbits
	.addrsig
	.addrsig_sym __hip_cuid_f89316d460c89cc7
	.amdgpu_metadata
---
amdhsa.kernels:
  - .args:
      - .actual_access:  read_only
        .address_space:  global
        .offset:         0
        .size:           8
        .value_kind:     global_buffer
      - .actual_access:  read_only
        .address_space:  global
        .offset:         8
        .size:           8
        .value_kind:     global_buffer
      - .actual_access:  read_only
        .address_space:  global
        .offset:         16
        .size:           8
        .value_kind:     global_buffer
      - .actual_access:  read_only
        .address_space:  global
        .offset:         24
        .size:           8
        .value_kind:     global_buffer
      - .actual_access:  read_only
        .address_space:  global
        .offset:         32
        .size:           8
        .value_kind:     global_buffer
      - .offset:         40
        .size:           8
        .value_kind:     by_value
      - .address_space:  global
        .offset:         48
        .size:           8
        .value_kind:     global_buffer
      - .address_space:  global
        .offset:         56
        .size:           8
        .value_kind:     global_buffer
      - .address_space:  global
        .offset:         64
        .size:           8
        .value_kind:     global_buffer
      - .address_space:  global
        .offset:         72
        .size:           8
        .value_kind:     global_buffer
      - .offset:         80
        .size:           4
        .value_kind:     by_value
      - .address_space:  global
        .offset:         88
        .size:           8
        .value_kind:     global_buffer
      - .address_space:  global
        .offset:         96
        .size:           8
        .value_kind:     global_buffer
    .group_segment_fixed_size: 22176
    .kernarg_segment_align: 8
    .kernarg_segment_size: 104
    .language:       OpenCL C
    .language_version:
      - 2
      - 0
    .max_flat_workgroup_size: 231
    .name:           bluestein_single_fwd_len1386_dim1_dp_op_CI_CI
    .private_segment_fixed_size: 220
    .sgpr_count:     42
    .sgpr_spill_count: 0
    .symbol:         bluestein_single_fwd_len1386_dim1_dp_op_CI_CI.kd
    .uniform_work_group_size: 1
    .uses_dynamic_stack: false
    .vgpr_count:     256
    .vgpr_spill_count: 54
    .wavefront_size: 32
    .workgroup_processor_mode: 1
amdhsa.target:   amdgcn-amd-amdhsa--gfx1201
amdhsa.version:
  - 1
  - 2
...

	.end_amdgpu_metadata
